;; amdgpu-corpus repo=ROCm/rocFFT kind=compiled arch=gfx1201 opt=O3
	.text
	.amdgcn_target "amdgcn-amd-amdhsa--gfx1201"
	.amdhsa_code_object_version 6
	.protected	bluestein_single_fwd_len1716_dim1_half_op_CI_CI ; -- Begin function bluestein_single_fwd_len1716_dim1_half_op_CI_CI
	.globl	bluestein_single_fwd_len1716_dim1_half_op_CI_CI
	.p2align	8
	.type	bluestein_single_fwd_len1716_dim1_half_op_CI_CI,@function
bluestein_single_fwd_len1716_dim1_half_op_CI_CI: ; @bluestein_single_fwd_len1716_dim1_half_op_CI_CI
; %bb.0:
	s_load_b128 s[8:11], s[0:1], 0x28
	v_mul_u32_u24_e32 v1, 0x1a5, v0
	s_mov_b32 s2, exec_lo
	v_mov_b32_e32 v17, 0
	s_delay_alu instid0(VALU_DEP_2) | instskip(NEXT) | instid1(VALU_DEP_1)
	v_lshrrev_b32_e32 v1, 16, v1
	v_add_nc_u32_e32 v16, ttmp9, v1
	s_wait_kmcnt 0x0
	s_delay_alu instid0(VALU_DEP_1)
	v_cmpx_gt_u64_e64 s[8:9], v[16:17]
	s_cbranch_execz .LBB0_31
; %bb.1:
	s_clause 0x1
	s_load_b64 s[20:21], s[0:1], 0x0
	s_load_b64 s[8:9], s[0:1], 0x38
	v_mul_lo_u16 v1, 0x9c, v1
	s_delay_alu instid0(VALU_DEP_1) | instskip(NEXT) | instid1(VALU_DEP_1)
	v_sub_nc_u16 v0, v0, v1
	v_and_b32_e32 v32, 0xffff, v0
	v_cmp_gt_u16_e32 vcc_lo, 0x84, v0
	s_delay_alu instid0(VALU_DEP_2)
	v_lshlrev_b32_e32 v31, 2, v32
	s_and_saveexec_b32 s3, vcc_lo
	s_cbranch_execz .LBB0_3
; %bb.2:
	s_load_b64 s[4:5], s[0:1], 0x18
	s_delay_alu instid0(VALU_DEP_1)
	v_add_nc_u32_e32 v29, 0xc00, v31
	s_wait_kmcnt 0x0
	s_load_b128 s[4:7], s[4:5], 0x0
	s_wait_kmcnt 0x0
	v_mad_co_u64_u32 v[0:1], null, s6, v16, 0
	v_mad_co_u64_u32 v[2:3], null, s4, v32, 0
	s_delay_alu instid0(VALU_DEP_1) | instskip(NEXT) | instid1(VALU_DEP_1)
	v_mad_co_u64_u32 v[4:5], null, s7, v16, v[1:2]
	v_mad_co_u64_u32 v[5:6], null, s5, v32, v[3:4]
	v_mov_b32_e32 v1, v4
	s_mul_u64 s[4:5], s[4:5], 0x210
	s_delay_alu instid0(VALU_DEP_1) | instskip(NEXT) | instid1(VALU_DEP_3)
	v_lshlrev_b64_e32 v[0:1], 2, v[0:1]
	v_mov_b32_e32 v3, v5
	s_clause 0x7
	global_load_b32 v4, v31, s[20:21]
	global_load_b32 v5, v31, s[20:21] offset:528
	global_load_b32 v6, v31, s[20:21] offset:1056
	;; [unrolled: 1-line block ×7, first 2 shown]
	v_add_co_u32 v0, s2, s10, v0
	v_lshlrev_b64_e32 v[2:3], 2, v[2:3]
	v_add_co_ci_u32_e64 v1, s2, s11, v1, s2
	s_delay_alu instid0(VALU_DEP_2) | instskip(SKIP_1) | instid1(VALU_DEP_2)
	v_add_co_u32 v0, s2, v0, v2
	s_wait_alu 0xf1ff
	v_add_co_ci_u32_e64 v1, s2, v1, v3, s2
	global_load_b32 v12, v[0:1], off
	s_wait_alu 0xfffe
	v_add_co_u32 v0, s2, v0, s4
	s_wait_alu 0xf1ff
	v_add_co_ci_u32_e64 v1, s2, s5, v1, s2
	s_clause 0x3
	global_load_b32 v13, v31, s[20:21] offset:4224
	global_load_b32 v14, v31, s[20:21] offset:4752
	;; [unrolled: 1-line block ×4, first 2 shown]
	global_load_b32 v18, v[0:1], off
	v_add_co_u32 v0, s2, v0, s4
	s_wait_alu 0xf1ff
	v_add_co_ci_u32_e64 v1, s2, s5, v1, s2
	global_load_b32 v19, v31, s[20:21] offset:6336
	v_add_co_u32 v2, s2, v0, s4
	s_wait_alu 0xf1ff
	v_add_co_ci_u32_e64 v3, s2, s5, v1, s2
	global_load_b32 v20, v[0:1], off
	v_add_co_u32 v0, s2, v2, s4
	s_wait_alu 0xf1ff
	v_add_co_ci_u32_e64 v1, s2, s5, v3, s2
	s_clause 0x1
	global_load_b32 v21, v[2:3], off
	global_load_b32 v22, v[0:1], off
	v_add_co_u32 v0, s2, v0, s4
	s_wait_alu 0xf1ff
	v_add_co_ci_u32_e64 v1, s2, s5, v1, s2
	s_delay_alu instid0(VALU_DEP_2) | instskip(SKIP_1) | instid1(VALU_DEP_2)
	v_add_co_u32 v2, s2, v0, s4
	s_wait_alu 0xf1ff
	v_add_co_ci_u32_e64 v3, s2, s5, v1, s2
	global_load_b32 v23, v[0:1], off
	v_add_co_u32 v0, s2, v2, s4
	s_wait_alu 0xf1ff
	v_add_co_ci_u32_e64 v1, s2, s5, v3, s2
	global_load_b32 v24, v[2:3], off
	global_load_b32 v25, v[0:1], off
	v_add_co_u32 v0, s2, v0, s4
	s_wait_alu 0xf1ff
	v_add_co_ci_u32_e64 v1, s2, s5, v1, s2
	s_delay_alu instid0(VALU_DEP_2) | instskip(SKIP_1) | instid1(VALU_DEP_2)
	v_add_co_u32 v2, s2, v0, s4
	s_wait_alu 0xf1ff
	v_add_co_ci_u32_e64 v3, s2, s5, v1, s2
	global_load_b32 v26, v[0:1], off
	v_add_co_u32 v0, s2, v2, s4
	s_wait_alu 0xf1ff
	v_add_co_ci_u32_e64 v1, s2, s5, v3, s2
	global_load_b32 v27, v[2:3], off
	;; [unrolled: 4-line block ×4, first 2 shown]
	global_load_b32 v0, v[0:1], off
	v_add_nc_u32_e32 v1, 0x400, v31
	v_add_nc_u32_e32 v3, 0x800, v31
	s_wait_loadcnt 0x19
	v_lshrrev_b32_e32 v30, 16, v4
	s_wait_loadcnt 0x18
	v_lshrrev_b32_e32 v33, 16, v5
	;; [unrolled: 2-line block ×9, first 2 shown]
	v_mul_f16_e32 v45, v30, v12
	s_wait_loadcnt 0x10
	v_lshrrev_b32_e32 v40, 16, v13
	s_wait_loadcnt 0xf
	v_lshrrev_b32_e32 v42, 16, v14
	;; [unrolled: 2-line block ×3, first 2 shown]
	v_mul_f16_e32 v30, v30, v41
	s_wait_loadcnt 0xc
	v_lshrrev_b32_e32 v46, 16, v18
	v_mul_f16_e32 v48, v33, v18
	v_fma_f16 v41, v4, v41, -v45
	v_lshrrev_b32_e32 v44, 16, v17
	v_fmac_f16_e32 v30, v4, v12
	v_mul_f16_e32 v4, v33, v46
	v_fma_f16 v33, v5, v46, -v48
	s_wait_loadcnt 0xb
	v_lshrrev_b32_e32 v47, 16, v19
	s_wait_loadcnt 0xa
	v_lshrrev_b32_e32 v12, 16, v20
	v_mul_f16_e32 v45, v34, v20
	v_fmac_f16_e32 v4, v5, v18
	v_pack_b32_f16 v30, v30, v41
	s_delay_alu instid0(VALU_DEP_4)
	v_mul_f16_e32 v5, v34, v12
	s_wait_loadcnt 0x9
	v_lshrrev_b32_e32 v18, 16, v21
	v_mul_f16_e32 v34, v35, v21
	v_fma_f16 v12, v6, v12, -v45
	v_pack_b32_f16 v4, v4, v33
	v_fmac_f16_e32 v5, v6, v20
	v_mul_f16_e32 v6, v35, v18
	s_wait_loadcnt 0x8
	v_lshrrev_b32_e32 v20, 16, v22
	v_fma_f16 v18, v7, v18, -v34
	v_mul_f16_e32 v33, v36, v22
	ds_store_2addr_b32 v31, v30, v4 offset1:132
	v_pack_b32_f16 v4, v5, v12
	v_fmac_f16_e32 v6, v7, v21
	v_mul_f16_e32 v5, v36, v20
	s_wait_loadcnt 0x7
	v_lshrrev_b32_e32 v7, 16, v23
	v_mul_f16_e32 v12, v37, v23
	v_fma_f16 v20, v8, v20, -v33
	v_pack_b32_f16 v6, v6, v18
	v_fmac_f16_e32 v5, v8, v22
	v_mul_f16_e32 v8, v37, v7
	v_fma_f16 v7, v9, v7, -v12
	s_wait_loadcnt 0x6
	v_lshrrev_b32_e32 v12, 16, v24
	ds_store_2addr_b32 v1, v4, v6 offset0:8 offset1:140
	v_pack_b32_f16 v1, v5, v20
	v_fmac_f16_e32 v8, v9, v23
	s_wait_loadcnt 0x5
	v_lshrrev_b32_e32 v5, 16, v25
	v_mul_f16_e32 v18, v38, v24
	v_mul_f16_e32 v4, v38, v12
	;; [unrolled: 1-line block ×3, first 2 shown]
	v_pack_b32_f16 v7, v8, v7
	v_mul_f16_e32 v8, v39, v5
	v_fma_f16 v6, v10, v12, -v18
	v_fmac_f16_e32 v4, v10, v24
	s_wait_loadcnt 0x4
	v_lshrrev_b32_e32 v10, 16, v26
	v_fma_f16 v5, v11, v5, -v9
	v_mul_f16_e32 v9, v40, v26
	v_fmac_f16_e32 v8, v11, v25
	s_wait_loadcnt 0x3
	v_lshrrev_b32_e32 v11, 16, v27
	v_pack_b32_f16 v4, v4, v6
	v_mul_f16_e32 v6, v40, v10
	v_fma_f16 v9, v13, v10, -v9
	v_mul_f16_e32 v10, v42, v27
	v_pack_b32_f16 v5, v8, v5
	v_mul_f16_e32 v8, v42, v11
	v_fmac_f16_e32 v6, v13, v26
	s_wait_loadcnt 0x2
	v_lshrrev_b32_e32 v12, 16, v28
	v_fma_f16 v10, v14, v11, -v10
	v_mul_f16_e32 v11, v43, v28
	v_fmac_f16_e32 v8, v14, v27
	s_wait_loadcnt 0x1
	v_lshrrev_b32_e32 v13, 16, v2
	s_wait_loadcnt 0x0
	v_lshrrev_b32_e32 v14, 16, v0
	v_pack_b32_f16 v6, v6, v9
	v_mul_f16_e32 v9, v43, v12
	v_fma_f16 v11, v15, v12, -v11
	v_mul_f16_e32 v12, v44, v2
	v_pack_b32_f16 v8, v8, v10
	v_mul_f16_e32 v10, v44, v13
	v_mul_f16_e32 v18, v47, v14
	v_mul_f16_e32 v20, v47, v0
	v_fmac_f16_e32 v9, v15, v28
	v_fma_f16 v12, v17, v13, -v12
	v_fmac_f16_e32 v10, v17, v2
	v_add_nc_u32_e32 v2, 0x1000, v31
	v_fmac_f16_e32 v18, v19, v0
	v_fma_f16 v0, v19, v14, -v20
	v_pack_b32_f16 v9, v9, v11
	v_pack_b32_f16 v10, v10, v12
	v_add_nc_u32_e32 v11, 0x1400, v31
	s_delay_alu instid0(VALU_DEP_4)
	v_pack_b32_f16 v0, v18, v0
	ds_store_2addr_b32 v3, v1, v7 offset0:16 offset1:148
	ds_store_2addr_b32 v29, v4, v5 offset0:24 offset1:156
	;; [unrolled: 1-line block ×4, first 2 shown]
	ds_store_b32 v31, v0 offset:6336
.LBB0_3:
	s_or_b32 exec_lo, exec_lo, s3
	v_mov_b32_e32 v4, 0
                                        ; kill: def $vgpr0 killed $sgpr0 killed $exec
	global_wb scope:SCOPE_SE
	s_wait_dscnt 0x0
	s_wait_kmcnt 0x0
	s_barrier_signal -1
	s_barrier_wait -1
	global_inv scope:SCOPE_SE
                                        ; implicit-def: $vgpr17
                                        ; implicit-def: $vgpr1
                                        ; implicit-def: $vgpr3
                                        ; implicit-def: $vgpr7
                                        ; implicit-def: $vgpr9
                                        ; implicit-def: $vgpr11
	s_and_saveexec_b32 s2, vcc_lo
	s_cbranch_execz .LBB0_5
; %bb.4:
	v_add_nc_u32_e32 v0, 0x400, v31
	v_add_nc_u32_e32 v1, 0x800, v31
	;; [unrolled: 1-line block ×5, first 2 shown]
	ds_load_2addr_b32 v[4:5], v31 offset1:132
	ds_load_2addr_b32 v[10:11], v0 offset0:8 offset1:140
	ds_load_2addr_b32 v[8:9], v1 offset0:16 offset1:148
	;; [unrolled: 1-line block ×5, first 2 shown]
	ds_load_b32 v17, v31 offset:6336
.LBB0_5:
	s_wait_alu 0xfffe
	s_or_b32 exec_lo, exec_lo, s2
	s_wait_dscnt 0x0
	v_pk_add_f16 v18, v5, v17 neg_lo:[0,1] neg_hi:[0,1]
	v_pk_add_f16 v19, v10, v1 neg_lo:[0,1] neg_hi:[0,1]
	v_pk_add_f16 v20, v17, v5
	v_pk_add_f16 v21, v1, v10
	v_pk_add_f16 v22, v11, v0 neg_lo:[0,1] neg_hi:[0,1]
	v_lshrrev_b32_e32 v75, 16, v18
	v_lshrrev_b32_e32 v78, 16, v19
	;; [unrolled: 1-line block ×3, first 2 shown]
	v_mul_f16_e32 v43, 0xba95, v18
	v_pk_mul_f16 v24, 0x388bb5ac, v21
	v_mul_f16_e32 v29, 0xb770, v75
	v_mul_f16_e32 v47, 0xbbf1, v75
	;; [unrolled: 1-line block ×3, first 2 shown]
	v_lshrrev_b32_e32 v37, 16, v4
	v_pk_mul_f16 v12, 0x3b15388b, v20
	v_fmamk_f16 v13, v20, 0x3b15, v29
	v_mul_f16_e32 v57, 0xbbf1, v18
	v_fma_f16 v14, v59, 0x388b, -v43
	v_fmamk_f16 v15, v20, 0x2fb7, v47
	v_fmamk_f16 v23, v21, 0x388b, v30
	v_add_f16_e32 v13, v13, v4
	v_lshrrev_b32_e32 v61, 16, v21
	v_lshrrev_b32_e32 v80, 16, v22
	v_mul_f16_e32 v50, 0xbb7b, v19
	v_mul_f16_e32 v53, 0xb3a8, v78
	v_pk_fma_f16 v38, 0xbb7bba95, v19, v24 op_sel:[0,0,1] op_sel_hi:[1,1,0] neg_lo:[0,1,0] neg_hi:[0,1,0]
	v_pk_fma_f16 v39, 0xbb7bba95, v19, v24 op_sel:[0,0,1] op_sel_hi:[1,1,0]
	v_pk_add_f16 v24, v8, v3 neg_lo:[0,1] neg_hi:[0,1]
	v_pk_fma_f16 v25, 0xba95b770, v18, v12 op_sel:[0,0,1] op_sel_hi:[1,1,0] neg_lo:[0,1,0] neg_hi:[0,1,0]
	v_pk_fma_f16 v27, 0xba95b770, v18, v12 op_sel:[0,0,1] op_sel_hi:[1,1,0]
	v_fma_f16 v12, v59, 0x2fb7, -v57
	v_add_f16_e32 v14, v14, v37
	v_add_f16_e32 v15, v15, v4
	;; [unrolled: 1-line block ×3, first 2 shown]
	v_mul_f16_e32 v64, 0xb3a8, v19
	v_pk_add_f16 v23, v0, v11
	v_mul_f16_e32 v40, 0xbbf1, v80
	v_fma_f16 v26, v61, 0xb5ac, -v50
	v_fmamk_f16 v28, v21, 0xbbc4, v53
	v_lshrrev_b32_e32 v81, 16, v24
	v_add_f16_e32 v12, v12, v37
	v_fma_f16 v33, v61, 0xbbc4, -v64
	v_fmamk_f16 v34, v23, 0x2fb7, v40
	v_add_f16_e32 v14, v26, v14
	v_add_f16_e32 v15, v28, v15
	v_pk_mul_f16 v28, 0x2fb7bbc4, v23
	v_lshrrev_b32_e32 v68, 16, v23
	v_mul_f16_e32 v56, 0xb3a8, v22
	v_pk_add_f16 v26, v3, v8
	v_mul_f16_e32 v45, 0xbb7b, v81
	v_add_f16_e32 v12, v33, v12
	v_add_f16_e32 v13, v34, v13
	v_pk_fma_f16 v42, 0xb3a8bbf1, v22, v28 op_sel:[0,0,1] op_sel_hi:[1,1,0] neg_lo:[0,1,0] neg_hi:[0,1,0]
	v_fma_f16 v33, v68, 0xbbc4, -v56
	v_pk_fma_f16 v44, 0xb3a8bbf1, v22, v28 op_sel:[0,0,1] op_sel_hi:[1,1,0]
	v_fmamk_f16 v28, v26, 0xb5ac, v45
	v_mul_f16_e32 v60, 0x3b7b, v80
	v_mul_f16_e32 v69, 0x3b7b, v22
	v_add_f16_e32 v14, v33, v14
	v_pk_mul_f16 v33, 0xb5acb9fd, v26
	v_lshrrev_b32_e32 v70, 16, v26
	v_mul_f16_e32 v51, 0x394e, v24
	v_add_f16_e32 v13, v28, v13
	v_pk_add_f16 v28, v9, v2 neg_lo:[0,1] neg_hi:[0,1]
	v_fmamk_f16 v34, v23, 0xb5ac, v60
	v_fma_f16 v35, v68, 0xb5ac, -v69
	v_pk_fma_f16 v48, 0x394ebb7b, v24, v33 op_sel:[0,0,1] op_sel_hi:[1,1,0] neg_lo:[0,1,0] neg_hi:[0,1,0]
	v_pk_fma_f16 v49, 0x394ebb7b, v24, v33 op_sel:[0,0,1] op_sel_hi:[1,1,0]
	v_fma_f16 v33, v70, 0xb9fd, -v51
	v_mul_f16_e32 v65, 0x3770, v81
	v_lshrrev_b32_e32 v82, 16, v28
	v_mul_f16_e32 v73, 0x3770, v24
	v_pk_add_f16 v36, v2, v9
	v_add_f16_e32 v15, v34, v15
	v_add_f16_e32 v12, v35, v12
	;; [unrolled: 1-line block ×3, first 2 shown]
	v_fmamk_f16 v33, v26, 0x3b15, v65
	v_mul_f16_e32 v52, 0xb94e, v82
	v_fma_f16 v34, v70, 0x3b15, -v73
	v_lshrrev_b32_e32 v74, 16, v36
	v_mul_f16_e32 v58, 0x3bf1, v28
	v_add_f16_e32 v15, v33, v15
	v_fmamk_f16 v33, v36, 0xb9fd, v52
	v_pk_mul_f16 v35, 0xb9fd2fb7, v36
	v_add_f16_e32 v12, v34, v12
	v_fma_f16 v34, v74, 0x2fb7, -v58
	v_mul_f16_e32 v62, 0xba95, v82
	v_add_f16_e32 v13, v33, v13
	v_pk_fma_f16 v54, 0x3bf1b94e, v28, v35 op_sel:[0,0,1] op_sel_hi:[1,1,0] neg_lo:[0,1,0] neg_hi:[0,1,0]
	v_pk_fma_f16 v55, 0x3bf1b94e, v28, v35 op_sel:[0,0,1] op_sel_hi:[1,1,0]
	v_add_f16_e32 v33, v34, v14
	v_fmamk_f16 v14, v36, 0x388b, v62
	v_pk_add_f16 v41, v6, v7 neg_lo:[0,1] neg_hi:[0,1]
	v_add_f16_e32 v34, v25, v37
	v_lshrrev_b32_e32 v35, 16, v27
	v_mul_f16_e32 v76, 0xba95, v28
	v_add_f16_e32 v84, v14, v15
	v_lshrrev_b32_e32 v83, 16, v41
	v_add_f16_e32 v14, v38, v34
	v_add_f16_e32 v15, v35, v4
	v_lshrrev_b32_e32 v34, 16, v39
	v_fma_f16 v35, v74, 0x388b, -v76
	v_pk_add_f16 v46, v7, v6
	v_mul_f16_e32 v63, 0xb3a8, v83
	v_add_f16_e32 v14, v42, v14
	v_add_f16_e32 v15, v34, v15
	v_lshrrev_b32_e32 v34, 16, v44
	s_clause 0x1
	s_load_b64 s[4:5], s[0:1], 0x20
	s_load_b64 s[2:3], s[0:1], 0x8
	v_add_f16_e32 v85, v35, v12
	v_fmamk_f16 v12, v46, 0xbbc4, v63
	v_pk_mul_f16 v35, 0xbbc43b15, v46
	v_add_f16_e32 v14, v48, v14
	v_add_f16_e32 v15, v34, v15
	v_lshrrev_b32_e32 v67, 16, v49
	v_add_f16_e32 v34, v12, v13
	v_lshrrev_b32_e32 v77, 16, v46
	;; [unrolled: 2-line block ×3, first 2 shown]
	v_add_f16_e32 v13, v67, v15
	v_pk_fma_f16 v67, 0x3770b3a8, v41, v35 op_sel:[0,0,1] op_sel_hi:[1,1,0]
	v_mul_f16_e32 v71, 0x3770, v41
	v_mul_f16_e32 v72, 0xb94e, v83
	;; [unrolled: 1-line block ×3, first 2 shown]
	v_pk_fma_f16 v66, 0x3770b3a8, v41, v35 op_sel:[0,0,1] op_sel_hi:[1,1,0] neg_lo:[0,1,0] neg_hi:[0,1,0]
	v_add_f16_e32 v13, v14, v13
	v_lshrrev_b32_e32 v14, 16, v67
	v_fma_f16 v15, v77, 0x3b15, -v71
	v_fmamk_f16 v86, v46, 0xb9fd, v72
	v_fma_f16 v87, v77, 0xb9fd, -v79
	v_add_f16_e32 v35, v66, v12
	v_add_f16_e32 v14, v14, v13
	;; [unrolled: 1-line block ×5, first 2 shown]
	v_mul_lo_u16 v33, v32, 13
	global_wb scope:SCOPE_SE
	s_wait_kmcnt 0x0
	s_barrier_signal -1
	s_barrier_wait -1
	global_inv scope:SCOPE_SE
	s_and_saveexec_b32 s0, vcc_lo
	s_cbranch_execz .LBB0_7
; %bb.6:
	v_mul_f16_e32 v84, 0xb5ac, v59
	v_mul_f16_e32 v85, 0xbb7b, v75
	;; [unrolled: 1-line block ×5, first 2 shown]
	v_fmamk_f16 v89, v18, 0x3b7b, v84
	v_fmamk_f16 v91, v20, 0xb5ac, v85
	;; [unrolled: 1-line block ×3, first 2 shown]
	v_mul_f16_e32 v92, 0x2fb7, v70
	v_fmamk_f16 v94, v21, 0xb9fd, v87
	v_add_f16_e32 v89, v89, v37
	v_add_f16_e32 v91, v91, v4
	v_fmamk_f16 v96, v22, 0xb770, v88
	v_mul_f16_e32 v90, 0x3770, v80
	v_mul_f16_e32 v95, 0xbbf1, v81
	v_add_f16_e32 v89, v93, v89
	v_add_f16_e32 v91, v94, v91
	v_fmamk_f16 v94, v24, 0x3bf1, v92
	v_fmamk_f16 v93, v23, 0x3b15, v90
	v_mul_f16_e32 v101, 0x388b, v77
	v_add_f16_e32 v89, v96, v89
	v_mul_f16_e32 v96, 0xbbc4, v74
	v_fmamk_f16 v97, v26, 0x2fb7, v95
	v_add_f16_e32 v91, v93, v91
	v_mul_f16_e32 v98, 0x33a8, v82
	v_add_f16_e32 v89, v94, v89
	v_fmamk_f16 v99, v28, 0xb3a8, v96
	v_mul_f16_e32 v75, 0xb94e, v75
	v_add_f16_e32 v91, v97, v91
	v_fmamk_f16 v100, v36, 0xbbc4, v98
	;; [unrolled: 3-line block ×3, first 2 shown]
	v_fmamk_f16 v106, v20, 0xb9fd, v75
	v_add_f16_e32 v91, v100, v91
	v_mul_f16_e32 v93, 0xb9fd, v59
	v_mul_f16_e32 v80, 0xba95, v80
	v_add_f16_e32 v89, v99, v89
	v_mul_f16_e32 v99, 0x3a95, v83
	v_mul_f16_e32 v97, 0x2fb7, v61
	v_fmamk_f16 v94, v18, 0x394e, v93
	v_fmac_f16_e32 v93, 0xb94e, v18
	v_mul_f16_e32 v81, 0x33a8, v81
	v_fmamk_f16 v105, v46, 0x388b, v99
	v_fma_f16 v75, v20, 0xb9fd, -v75
	v_fmamk_f16 v102, v19, 0xbbf1, v97
	v_add_f16_e32 v93, v93, v37
	v_fmac_f16_e32 v97, 0x3bf1, v19
	v_add_f16_e32 v91, v105, v91
	v_add_f16_e32 v105, v106, v4
	v_fmamk_f16 v106, v21, 0x2fb7, v78
	v_mul_f16_e32 v82, 0x3770, v82
	v_add_f16_e32 v75, v75, v4
	v_fma_f16 v78, v21, 0x2fb7, -v78
	v_add_f16_e32 v93, v97, v93
	v_add_f16_e32 v105, v106, v105
	v_fmamk_f16 v106, v23, 0x388b, v80
	v_mul_f16_e32 v83, 0xbb7b, v83
	v_fmac_f16_e32 v84, 0xbb7b, v18
	v_add_f16_e32 v75, v78, v75
	v_fma_f16 v78, v23, 0x388b, -v80
	v_add_f16_e32 v105, v106, v105
	v_fmamk_f16 v106, v26, 0xbbc4, v81
	v_add_f16_e32 v80, v84, v37
	v_fmamk_f16 v84, v46, 0xb5ac, v83
	v_add_f16_e32 v75, v78, v75
	v_fma_f16 v78, v26, 0xbbc4, -v81
	v_add_f16_e32 v97, v106, v105
	v_fmamk_f16 v105, v36, 0x3b15, v82
	v_fma_f16 v83, v46, 0xb5ac, -v83
	v_fmac_f16_e32 v86, 0x394e, v19
	v_add_f16_e32 v75, v78, v75
	v_fma_f16 v78, v36, 0x3b15, -v82
	v_add_f16_e32 v97, v105, v97
	v_fmac_f16_e32 v88, 0x3770, v22
	v_add_f16_e32 v80, v86, v80
	v_mul_f16_e32 v86, 0x3b15, v20
	v_add_f16_e32 v75, v78, v75
	v_add_f16_e32 v82, v84, v97
	v_alignbit_b32 v84, v4, v4, 16
	v_fma_f16 v78, v20, 0xb5ac, -v85
	v_fma_f16 v85, v21, 0xb9fd, -v87
	v_add_f16_e32 v75, v83, v75
	v_mul_f16_e32 v83, 0x2fb7, v59
	v_pk_add_f16 v5, v5, v84 op_sel:[0,1] op_sel_hi:[1,0]
	v_add_f16_e32 v78, v78, v4
	v_mul_f16_e32 v59, 0x388b, v59
	v_mul_f16_e32 v87, 0x2fb7, v20
	v_add_f16_e32 v57, v57, v83
	v_pk_add_f16 v5, v10, v5
	v_add_f16_e32 v78, v85, v78
	v_mul_f16_e32 v85, 0xbbc4, v61
	v_fma_f16 v83, v23, 0x3b15, -v90
	v_mul_f16_e32 v61, 0xb5ac, v61
	v_add_f16_e32 v43, v43, v59
	v_pk_add_f16 v5, v11, v5
	v_add_f16_e32 v94, v94, v37
	v_mul_f16_e32 v103, 0x388b, v68
	v_add_f16_e32 v80, v88, v80
	v_add_f16_e32 v64, v64, v85
	v_mul_f16_e32 v85, 0x388b, v21
	v_add_f16_e32 v57, v57, v37
	v_add_f16_e32 v78, v83, v78
	v_mul_f16_e32 v83, 0xb5ac, v68
	v_fma_f16 v88, v26, 0x2fb7, -v95
	v_mul_f16_e32 v68, 0xbbc4, v68
	v_sub_f16_e32 v47, v87, v47
	v_add_f16_e32 v37, v43, v37
	v_add_f16_e32 v43, v50, v61
	v_sub_f16_e32 v29, v86, v29
	v_pk_add_f16 v5, v8, v5
	v_add_f16_e32 v94, v102, v94
	v_mul_f16_e32 v102, 0xbbc4, v70
	v_add_f16_e32 v57, v64, v57
	v_add_f16_e32 v69, v69, v83
	v_mul_f16_e32 v83, 0x2fb7, v23
	v_add_f16_e32 v78, v88, v78
	v_mul_f16_e32 v88, 0x3b15, v70
	v_fma_f16 v90, v36, 0xbbc4, -v98
	v_mul_f16_e32 v70, 0xb9fd, v70
	v_add_f16_e32 v47, v47, v4
	v_add_f16_e32 v37, v43, v37
	;; [unrolled: 1-line block ×4, first 2 shown]
	v_sub_f16_e32 v29, v85, v30
	v_pk_add_f16 v5, v9, v5
	v_mul_f16_e32 v104, 0x3b15, v74
	v_mul_f16_e32 v64, 0xbbc4, v21
	v_add_f16_e32 v57, v69, v57
	v_add_f16_e32 v73, v73, v88
	v_mul_f16_e32 v88, 0xb5ac, v26
	v_add_f16_e32 v78, v90, v78
	v_mul_f16_e32 v90, 0x388b, v74
	v_mul_f16_e32 v74, 0x2fb7, v74
	v_add_f16_e32 v37, v43, v37
	v_add_f16_e32 v10, v51, v70
	;; [unrolled: 1-line block ×3, first 2 shown]
	v_sub_f16_e32 v8, v83, v40
	v_pk_add_f16 v5, v6, v5
	v_add_f16_e32 v57, v73, v57
	v_mul_f16_e32 v73, 0xb9fd, v36
	v_sub_f16_e32 v53, v64, v53
	v_mul_f16_e32 v64, 0x3b15, v77
	v_add_f16_e32 v10, v10, v37
	v_add_f16_e32 v11, v58, v74
	;; [unrolled: 1-line block ×3, first 2 shown]
	v_sub_f16_e32 v8, v88, v45
	v_pk_add_f16 v5, v7, v5
	v_add_f16_e32 v76, v76, v90
	v_mul_f16_e32 v90, 0xbbc4, v46
	v_add_f16_e32 v10, v11, v10
	v_add_f16_e32 v11, v71, v64
	;; [unrolled: 1-line block ×3, first 2 shown]
	v_sub_f16_e32 v8, v73, v52
	v_pk_add_f16 v2, v2, v5
	v_and_b32_e32 v5, 0xffff, v33
	v_add_f16_e32 v9, v11, v10
	v_bfi_b32 v10, 0xffff, v27, v25
	v_add_f16_e32 v4, v8, v4
	v_sub_f16_e32 v8, v90, v63
	v_pk_mul_f16 v20, 0xbbc4, v20 op_sel_hi:[0,1]
	v_pk_add_f16 v2, v3, v2
	v_fmamk_f16 v100, v22, 0x3a95, v103
	v_bfi_b32 v6, 0xffff, v39, v38
	v_add_f16_e32 v4, v8, v4
	v_lshlrev_b32_e32 v3, 2, v5
	v_pk_add_f16 v5, v10, v84
	v_pk_fma_f16 v8, 0xb3a8, v18, v20 op_sel:[0,0,1] op_sel_hi:[0,1,0] neg_lo:[0,1,0] neg_hi:[0,1,0]
	v_pk_mul_f16 v10, 0x3b15, v21 op_sel_hi:[0,1]
	v_pk_add_f16 v0, v0, v2
	v_pk_fma_f16 v2, 0xb3a8, v18, v20 op_sel:[0,0,1] op_sel_hi:[0,1,0]
	v_fmac_f16_e32 v92, 0xbbf1, v24
	v_mul_f16_e32 v69, 0xb5ac, v23
	v_add_f16_e32 v94, v100, v94
	v_fmamk_f16 v100, v24, 0xb3a8, v102
	v_fmac_f16_e32 v103, 0xba95, v22
	v_bfi_b32 v11, 0xffff, v44, v42
	v_pk_add_f16 v5, v6, v5
	v_pk_add_f16 v6, v8, v84
	v_pk_fma_f16 v8, 0x3770, v19, v10 op_sel:[0,0,1] op_sel_hi:[0,1,0] neg_lo:[0,1,0] neg_hi:[0,1,0]
	v_pk_mul_f16 v18, 0xb9fd, v23 op_sel_hi:[0,1]
	v_pk_add_f16 v2, v2, v84
	v_pk_fma_f16 v10, 0x3770, v19, v10 op_sel:[0,0,1] op_sel_hi:[0,1,0]
	v_add_f16_e32 v80, v92, v80
	v_mul_f16_e32 v92, 0x3b15, v26
	v_add_f16_e32 v47, v53, v47
	v_sub_f16_e32 v53, v69, v60
	v_add_f16_e32 v94, v100, v94
	v_fmamk_f16 v100, v28, 0xb770, v104
	v_add_f16_e32 v93, v103, v93
	v_fmac_f16_e32 v102, 0x33a8, v24
	v_bfi_b32 v7, 0xffff, v49, v48
	v_pk_add_f16 v5, v11, v5
	v_pk_add_f16 v6, v8, v6
	v_pk_fma_f16 v8, 0xb94e, v22, v18 op_sel:[0,0,1] op_sel_hi:[0,1,0] neg_lo:[0,1,0] neg_hi:[0,1,0]
	v_pk_mul_f16 v11, 0x388b, v26 op_sel_hi:[0,1]
	v_pk_add_f16 v2, v10, v2
	v_pk_fma_f16 v10, 0xb94e, v22, v18 op_sel:[0,0,1] op_sel_hi:[0,1,0]
	v_mul_f16_e32 v87, 0x388b, v36
	v_add_f16_e32 v47, v53, v47
	v_sub_f16_e32 v53, v92, v65
	v_add_f16_e32 v94, v100, v94
	v_mul_f16_e32 v100, 0xb5ac, v77
	v_add_f16_e32 v93, v102, v93
	v_fmac_f16_e32 v104, 0x3770, v28
	v_bfi_b32 v25, 0xffff, v55, v54
	v_pk_add_f16 v5, v7, v5
	v_pk_add_f16 v6, v8, v6
	v_pk_fma_f16 v7, 0x3a95, v24, v11 op_sel:[0,0,1] op_sel_hi:[0,1,0] neg_lo:[0,1,0] neg_hi:[0,1,0]
	v_pk_mul_f16 v8, 0xb5ac, v36 op_sel_hi:[0,1]
	v_pk_add_f16 v2, v10, v2
	v_pk_fma_f16 v10, 0x3a95, v24, v11 op_sel:[0,0,1] op_sel_hi:[0,1,0]
	v_fmac_f16_e32 v96, 0x33a8, v28
	v_mul_f16_e32 v59, 0xb9fd, v46
	v_mul_f16_e32 v77, 0xb9fd, v77
	v_add_f16_e32 v47, v53, v47
	v_sub_f16_e32 v53, v87, v62
	v_fmamk_f16 v107, v41, 0x3b7b, v100
	v_add_f16_e32 v81, v104, v93
	v_fmac_f16_e32 v100, 0xbb7b, v41
	v_bfi_b32 v27, 0xffff, v67, v66
	v_pk_add_f16 v5, v25, v5
	v_pk_add_f16 v6, v7, v6
	v_pk_fma_f16 v7, 0xbb7b, v28, v8 op_sel:[0,0,1] op_sel_hi:[0,1,0] neg_lo:[0,1,0] neg_hi:[0,1,0]
	v_pk_mul_f16 v11, 0x2fb7, v46 op_sel_hi:[0,1]
	v_pk_add_f16 v2, v10, v2
	v_pk_fma_f16 v8, 0xbb7b, v28, v8 op_sel:[0,0,1] op_sel_hi:[0,1,0]
	v_add_f16_e32 v80, v96, v80
	v_fmac_f16_e32 v101, 0x3a95, v41
	v_fma_f16 v93, v46, 0x388b, -v99
	v_add_f16_e32 v57, v76, v57
	v_add_f16_e32 v60, v79, v77
	;; [unrolled: 1-line block ×3, first 2 shown]
	v_sub_f16_e32 v30, v59, v72
	v_add_f16_e32 v81, v100, v81
	v_pk_add_f16 v0, v1, v0
	v_pk_add_f16 v1, v27, v5
	;; [unrolled: 1-line block ×3, first 2 shown]
	v_pk_fma_f16 v6, 0x3bf1, v41, v11 op_sel:[0,0,1] op_sel_hi:[0,1,0] neg_lo:[0,1,0] neg_hi:[0,1,0]
	v_pk_add_f16 v2, v8, v2
	v_pk_fma_f16 v7, 0x3bf1, v41, v11 op_sel:[0,0,1] op_sel_hi:[0,1,0]
	v_add_f16_e32 v80, v101, v80
	v_add_f16_e32 v50, v93, v78
	;; [unrolled: 1-line block ×4, first 2 shown]
	v_pk_add_f16 v0, v17, v0
	v_alignbit_b32 v8, v9, v1, 16
	v_pack_b32_f16 v9, v75, v81
	v_pk_add_f16 v5, v6, v5
	v_pk_add_f16 v2, v7, v2
	v_add_f16_e32 v94, v107, v94
	v_pack_b32_f16 v1, v4, v1
	v_pack_b32_f16 v4, v29, v57
	v_pack_b32_f16 v6, v50, v80
	ds_store_2addr_b32 v3, v0, v9 offset1:5
	v_alignbit_b32 v0, v5, v2, 16
	v_alignbit_b32 v2, v2, v5, 16
	v_pack_b32_f16 v5, v91, v89
	v_pack_b32_f16 v7, v82, v94
	v_perm_b32 v9, v15, v14, 0x5040100
	v_perm_b32 v10, v13, v12, 0x5040100
	;; [unrolled: 1-line block ×3, first 2 shown]
	ds_store_2addr_b32 v3, v1, v8 offset0:1 offset1:2
	ds_store_2addr_b32 v3, v4, v6 offset0:3 offset1:4
	ds_store_2addr_b32 v3, v2, v0 offset0:6 offset1:7
	ds_store_2addr_b32 v3, v7, v5 offset0:8 offset1:9
	ds_store_2addr_b32 v3, v10, v9 offset0:10 offset1:11
	ds_store_b32 v3, v11 offset:48
.LBB0_7:
	s_wait_alu 0xfffe
	s_or_b32 exec_lo, exec_lo, s0
	v_add_nc_u32_e32 v0, 0x980, v31
	v_add_nc_u32_e32 v2, 0xf00, v31
	;; [unrolled: 1-line block ×4, first 2 shown]
	global_wb scope:SCOPE_SE
	s_wait_dscnt 0x0
	s_barrier_signal -1
	s_barrier_wait -1
	global_inv scope:SCOPE_SE
	ds_load_2addr_b32 v[4:5], v31 offset1:156
	ds_load_2addr_b32 v[0:1], v0 offset0:16 offset1:250
	ds_load_2addr_b32 v[8:9], v2 offset0:54 offset1:210
	;; [unrolled: 1-line block ×4, first 2 shown]
	v_cmp_gt_u16_e64 s0, 0x4e, v32
	s_delay_alu instid0(VALU_DEP_1)
	s_and_saveexec_b32 s1, s0
	s_cbranch_execz .LBB0_9
; %bb.8:
	ds_load_b32 v12, v31 offset:3120
	ds_load_b32 v14, v31 offset:6552
	s_wait_dscnt 0x1
	v_lshrrev_b32_e32 v13, 16, v12
	s_wait_dscnt 0x0
	v_lshrrev_b32_e32 v15, 16, v14
.LBB0_9:
	s_wait_alu 0xfffe
	s_or_b32 exec_lo, exec_lo, s1
	v_and_b32_e32 v10, 0xff, v32
	v_add_co_u32 v17, null, 0x138, v32
	v_add_co_u32 v18, null, 0x1d4, v32
	s_delay_alu instid0(VALU_DEP_3) | instskip(SKIP_3) | instid1(VALU_DEP_4)
	v_mul_lo_u16 v11, 0x4f, v10
	v_add_nc_u16 v10, v32, 0x9c
	v_add_co_u32 v19, null, 0x270, v32
	v_add_nc_u16 v20, v32, 0x30c
	v_lshrrev_b16 v21, 10, v11
	s_delay_alu instid0(VALU_DEP_4)
	v_and_b32_e32 v11, 0xffff, v10
	v_and_b32_e32 v22, 0xffff, v17
	v_and_b32_e32 v23, 0xffff, v18
	v_and_b32_e32 v24, 0xffff, v19
	v_and_b32_e32 v26, 0xffff, v20
	v_mul_u32_u24_e32 v11, 0x4ec5, v11
	v_mul_lo_u16 v25, v21, 13
	v_mul_u32_u24_e32 v22, 0x4ec5, v22
	v_mul_u32_u24_e32 v23, 0x4ec5, v23
	;; [unrolled: 1-line block ×4, first 2 shown]
	v_lshrrev_b32_e32 v27, 18, v11
	v_sub_nc_u16 v25, v32, v25
	v_lshrrev_b32_e32 v22, 18, v22
	v_lshrrev_b32_e32 v23, 18, v23
	;; [unrolled: 1-line block ×4, first 2 shown]
	v_mul_lo_u16 v28, v27, 13
	v_and_b32_e32 v25, 0xff, v25
	v_mul_lo_u16 v30, v22, 13
	v_mul_lo_u16 v36, v23, 13
	;; [unrolled: 1-line block ×4, first 2 shown]
	v_sub_nc_u16 v28, v10, v28
	v_lshlrev_b32_e32 v29, 2, v25
	v_sub_nc_u16 v17, v17, v30
	v_sub_nc_u16 v18, v18, v36
	;; [unrolled: 1-line block ×4, first 2 shown]
	v_and_b32_e32 v30, 0xffff, v28
	v_and_b32_e32 v36, 0xffff, v17
	global_load_b32 v43, v29, s[2:3]
	v_and_b32_e32 v37, 0xffff, v18
	v_and_b32_e32 v38, 0xffff, v19
	;; [unrolled: 1-line block ×3, first 2 shown]
	v_lshlrev_b32_e32 v30, 2, v30
	v_lshlrev_b32_e32 v36, 2, v36
	;; [unrolled: 1-line block ×5, first 2 shown]
	s_clause 0x4
	global_load_b32 v44, v30, s[2:3]
	global_load_b32 v41, v36, s[2:3]
	;; [unrolled: 1-line block ×5, first 2 shown]
	v_and_b32_e32 v21, 0xffff, v21
	v_mad_u16 v17, v22, 26, v17
	v_mad_u16 v18, v23, 26, v18
	s_wait_dscnt 0x3
	v_lshrrev_b32_e32 v30, 16, v1
	v_mad_u16 v19, v24, 26, v19
	v_mul_u32_u24_e32 v21, 26, v21
	v_and_b32_e32 v17, 0xffff, v17
	v_and_b32_e32 v18, 0xffff, v18
	s_wait_dscnt 0x2
	v_lshrrev_b32_e32 v45, 16, v8
	v_and_b32_e32 v19, 0xffff, v19
	v_add_lshl_u32 v37, v21, v25, 2
	v_mad_u16 v21, v27, 26, v28
	v_lshlrev_b32_e32 v47, 2, v17
	v_lshrrev_b32_e32 v54, 16, v9
	v_mad_u16 v42, v26, 26, v20
	s_wait_dscnt 0x0
	v_lshrrev_b32_e32 v59, 16, v6
	v_and_b32_e32 v20, 0xffff, v21
	v_lshrrev_b32_e32 v61, 16, v7
	v_lshlrev_b32_e32 v48, 2, v18
	v_lshlrev_b32_e32 v49, 2, v19
	s_load_b128 s[4:7], s[4:5], 0x0
	v_lshlrev_b32_e32 v46, 2, v20
	v_lshrrev_b32_e32 v29, 16, v4
	v_lshrrev_b32_e32 v36, 16, v5
	;; [unrolled: 1-line block ×5, first 2 shown]
	global_wb scope:SCOPE_SE
	s_wait_loadcnt 0x0
	s_wait_kmcnt 0x0
	s_barrier_signal -1
	s_barrier_wait -1
	global_inv scope:SCOPE_SE
	v_lshrrev_b32_e32 v57, 16, v43
	s_delay_alu instid0(VALU_DEP_1)
	v_mul_f16_e32 v17, v30, v57
	v_lshrrev_b32_e32 v58, 16, v44
	v_lshrrev_b32_e32 v55, 16, v41
	v_lshrrev_b32_e32 v52, 16, v40
	v_lshrrev_b32_e32 v51, 16, v39
	v_mul_f16_e32 v18, v1, v57
	v_lshrrev_b32_e32 v50, 16, v38
	v_fma_f16 v1, v1, v43, -v17
	v_mul_f16_e32 v17, v45, v58
	v_mul_f16_e32 v19, v8, v58
	;; [unrolled: 1-line block ×8, first 2 shown]
	v_fmac_f16_e32 v18, v30, v43
	v_mul_f16_e32 v26, v15, v50
	v_mul_f16_e32 v27, v14, v50
	v_fma_f16 v8, v8, v44, -v17
	v_fmac_f16_e32 v19, v45, v44
	v_fma_f16 v9, v9, v41, -v20
	v_fmac_f16_e32 v21, v54, v41
	;; [unrolled: 2-line block ×4, first 2 shown]
	v_sub_f16_e32 v1, v4, v1
	v_sub_f16_e32 v18, v29, v18
	v_fma_f16 v20, v14, v38, -v26
	v_fmac_f16_e32 v27, v15, v38
	v_sub_f16_e32 v8, v5, v8
	v_sub_f16_e32 v19, v36, v19
	;; [unrolled: 1-line block ×8, first 2 shown]
	v_fma_f16 v28, v4, 2.0, -v1
	v_fma_f16 v29, v29, 2.0, -v18
	v_sub_f16_e32 v15, v12, v20
	v_sub_f16_e32 v23, v13, v27
	v_fma_f16 v6, v5, 2.0, -v8
	v_fma_f16 v17, v36, 2.0, -v19
	;; [unrolled: 1-line block ×6, first 2 shown]
	v_pack_b32_f16 v1, v1, v18
	v_fma_f16 v18, v0, 2.0, -v14
	v_fma_f16 v26, v60, 2.0, -v21
	;; [unrolled: 1-line block ×4, first 2 shown]
	v_pack_b32_f16 v0, v28, v29
	v_pack_b32_f16 v3, v8, v19
	;; [unrolled: 1-line block ×9, first 2 shown]
	ds_store_2addr_b32 v37, v0, v1 offset1:13
	ds_store_2addr_b32 v46, v6, v3 offset1:13
	;; [unrolled: 1-line block ×5, first 2 shown]
	s_and_saveexec_b32 s1, s0
	s_cbranch_execz .LBB0_11
; %bb.10:
	v_and_b32_e32 v0, 0xffff, v42
	v_perm_b32 v1, v25, v24, 0x5040100
	v_perm_b32 v2, v23, v15, 0x5040100
	s_delay_alu instid0(VALU_DEP_3)
	v_lshlrev_b32_e32 v0, 2, v0
	ds_store_2addr_b32 v0, v1, v2 offset1:13
.LBB0_11:
	s_wait_alu 0xfffe
	s_or_b32 exec_lo, exec_lo, s1
	global_wb scope:SCOPE_SE
	s_wait_dscnt 0x0
	s_barrier_signal -1
	s_barrier_wait -1
	global_inv scope:SCOPE_SE
	ds_load_b32 v6, v31
	ds_load_b32 v20, v31 offset:1144
	ds_load_b32 v19, v31 offset:2288
	;; [unrolled: 1-line block ×5, first 2 shown]
	v_cmp_gt_u16_e64 s1, 0x82, v32
	s_delay_alu instid0(VALU_DEP_1)
	s_and_saveexec_b32 s10, s1
	s_cbranch_execz .LBB0_13
; %bb.12:
	ds_load_b32 v4, v31 offset:624
	ds_load_b32 v7, v31 offset:1768
	ds_load_b32 v18, v31 offset:2912
	ds_load_b32 v14, v31 offset:4056
	ds_load_b32 v24, v31 offset:5200
	ds_load_b32 v15, v31 offset:6344
	s_wait_dscnt 0x5
	v_lshrrev_b32_e32 v5, 16, v4
	s_wait_dscnt 0x4
	v_lshrrev_b32_e32 v22, 16, v7
	;; [unrolled: 2-line block ×6, first 2 shown]
.LBB0_13:
	s_wait_alu 0xfffe
	s_or_b32 exec_lo, exec_lo, s10
	v_lshrrev_b32_e32 v29, 19, v11
	v_and_b32_e32 v1, 0xff, v32
	s_wait_dscnt 0x2
	v_lshrrev_b32_e32 v72, 16, v17
	s_wait_dscnt 0x0
	v_lshrrev_b32_e32 v74, 16, v12
	v_lshrrev_b32_e32 v69, 16, v20
	v_mul_lo_u16 v0, v29, 26
	v_lshrrev_b32_e32 v71, 16, v19
	v_lshrrev_b32_e32 v73, 16, v13
	;; [unrolled: 1-line block ×3, first 2 shown]
	s_delay_alu instid0(VALU_DEP_4) | instskip(SKIP_1) | instid1(VALU_DEP_2)
	v_sub_nc_u16 v30, v10, v0
	v_mul_lo_u16 v0, 0x4f, v1
	v_mul_lo_u16 v1, v30, 20
	s_delay_alu instid0(VALU_DEP_2) | instskip(NEXT) | instid1(VALU_DEP_2)
	v_lshrrev_b16 v45, 11, v0
	v_and_b32_e32 v0, 0xffff, v1
	s_delay_alu instid0(VALU_DEP_2) | instskip(NEXT) | instid1(VALU_DEP_2)
	v_mul_lo_u16 v1, v45, 26
	v_add_co_u32 v8, s10, s2, v0
	s_delay_alu instid0(VALU_DEP_2) | instskip(SKIP_2) | instid1(VALU_DEP_2)
	v_sub_nc_u16 v10, v32, v1
	s_wait_alu 0xf1ff
	v_add_co_ci_u32_e64 v9, null, s3, 0, s10
	v_and_b32_e32 v53, 0xff, v10
	s_clause 0x1
	global_load_b128 v[0:3], v[8:9], off offset:52
	global_load_b32 v36, v[8:9], off offset:68
	v_mad_co_u64_u32 v[27:28], null, v53, 20, s[2:3]
	s_clause 0x1
	global_load_b128 v[8:11], v[27:28], off offset:52
	global_load_b32 v61, v[27:28], off offset:68
	v_and_b32_e32 v27, 0xffff, v45
	v_mad_u16 v45, 0x9c, v29, v30
	global_wb scope:SCOPE_SE
	s_wait_loadcnt 0x0
	s_barrier_signal -1
	s_barrier_wait -1
	v_mul_u32_u24_e32 v27, 0x9c, v27
	global_inv scope:SCOPE_SE
	v_add_lshl_u32 v62, v27, v53, 2
	v_lshrrev_b32_e32 v56, 16, v0
	v_lshrrev_b32_e32 v53, 16, v1
	v_lshrrev_b32_e32 v60, 16, v2
	v_lshrrev_b32_e32 v54, 16, v3
	v_lshrrev_b32_e32 v59, 16, v36
	v_mul_f16_e32 v75, v22, v56
	v_mul_f16_e32 v28, v7, v56
	;; [unrolled: 1-line block ×8, first 2 shown]
	v_lshrrev_b32_e32 v67, 16, v8
	v_lshrrev_b32_e32 v65, 16, v10
	;; [unrolled: 1-line block ×4, first 2 shown]
	v_mul_f16_e32 v68, v14, v60
	v_mul_f16_e32 v29, v15, v59
	v_lshrrev_b32_e32 v66, 16, v9
	v_fma_f16 v7, v7, v0, -v75
	v_fmac_f16_e32 v28, v22, v0
	v_fma_f16 v18, v18, v1, -v76
	v_fmac_f16_e32 v30, v26, v1
	v_fma_f16 v22, v14, v2, -v77
	v_fma_f16 v14, v24, v3, -v78
	v_fmac_f16_e32 v27, v25, v3
	v_fma_f16 v15, v15, v36, -v79
	v_mul_f16_e32 v75, v20, v67
	v_mul_f16_e32 v78, v72, v65
	;; [unrolled: 1-line block ×6, first 2 shown]
	v_fmac_f16_e32 v68, v21, v2
	v_fmac_f16_e32 v29, v23, v36
	v_mul_f16_e32 v24, v69, v67
	v_mul_f16_e32 v76, v71, v66
	;; [unrolled: 1-line block ×4, first 2 shown]
	v_add_f16_e32 v84, v18, v14
	v_add_f16_e32 v85, v30, v27
	;; [unrolled: 1-line block ×3, first 2 shown]
	v_fmac_f16_e32 v75, v69, v8
	v_fma_f16 v17, v17, v10, -v78
	v_fmac_f16_e32 v79, v72, v10
	v_fmac_f16_e32 v81, v73, v11
	v_fma_f16 v73, v12, v61, -v82
	v_fmac_f16_e32 v83, v74, v61
	v_add_f16_e32 v87, v68, v29
	v_fma_f16 v20, v20, v8, -v24
	v_fma_f16 v19, v19, v9, -v76
	v_fmac_f16_e32 v77, v71, v9
	v_fma_f16 v69, v13, v11, -v80
	v_fma_f16 v13, -0.5, v84, v4
	v_fma_f16 v24, -0.5, v85, v5
	;; [unrolled: 1-line block ×3, first 2 shown]
	v_add_f16_e32 v84, v17, v73
	v_sub_f16_e32 v85, v79, v83
	v_add_f16_e32 v86, v75, v79
	v_add_f16_e32 v79, v79, v83
	v_fma_f16 v72, -0.5, v87, v28
	v_add_f16_e32 v74, v6, v19
	v_add_f16_e32 v76, v19, v69
	v_sub_f16_e32 v78, v77, v81
	v_add_f16_e32 v80, v70, v77
	v_add_f16_e32 v77, v77, v81
	v_sub_f16_e32 v82, v19, v69
	v_add_f16_e32 v19, v20, v17
	v_sub_f16_e32 v87, v17, v73
	v_fmac_f16_e32 v20, -0.5, v84
	v_fmac_f16_e32 v75, -0.5, v79
	v_sub_f16_e32 v25, v68, v29
	v_sub_f16_e32 v26, v22, v15
	v_add_f16_e32 v74, v74, v69
	v_fmac_f16_e32 v6, -0.5, v76
	v_add_f16_e32 v76, v80, v81
	v_fmac_f16_e32 v70, -0.5, v77
	v_add_f16_e32 v73, v19, v73
	v_add_f16_e32 v77, v86, v83
	v_fmamk_f16 v80, v85, 0x3aee, v20
	v_fmac_f16_e32 v20, 0xbaee, v85
	v_fmamk_f16 v81, v87, 0xbaee, v75
	v_fmac_f16_e32 v75, 0x3aee, v87
	v_fmamk_f16 v88, v25, 0xbaee, v71
	v_fmamk_f16 v89, v26, 0x3aee, v72
	;; [unrolled: 1-line block ×3, first 2 shown]
	v_fmac_f16_e32 v6, 0xbaee, v78
	v_fmamk_f16 v78, v82, 0xbaee, v70
	v_fmac_f16_e32 v70, 0x3aee, v82
	v_add_f16_e32 v82, v74, v73
	v_add_f16_e32 v83, v76, v77
	v_sub_f16_e32 v73, v74, v73
	v_sub_f16_e32 v74, v76, v77
	v_mul_f16_e32 v76, 0x3aee, v81
	v_mul_f16_e32 v77, -0.5, v20
	v_mul_f16_e32 v84, 0xbaee, v80
	v_mul_f16_e32 v85, -0.5, v75
	v_sub_f16_e32 v21, v30, v27
	v_sub_f16_e32 v23, v18, v14
	v_mul_f16_e32 v19, -0.5, v88
	v_mul_f16_e32 v69, -0.5, v89
	v_fmac_f16_e32 v76, 0.5, v80
	v_fmac_f16_e32 v77, 0x3aee, v75
	v_fmac_f16_e32 v84, 0.5, v81
	v_fmac_f16_e32 v85, 0xbaee, v20
	v_fmamk_f16 v12, v21, 0xbaee, v13
	v_fmamk_f16 v17, v23, 0x3aee, v24
	v_fmac_f16_e32 v19, 0x3aee, v89
	v_fmac_f16_e32 v69, 0xbaee, v88
	v_pack_b32_f16 v73, v73, v74
	v_add_f16_e32 v74, v79, v76
	v_add_f16_e32 v75, v6, v77
	;; [unrolled: 1-line block ×4, first 2 shown]
	v_sub_f16_e32 v6, v6, v77
	v_sub_f16_e32 v70, v70, v85
	;; [unrolled: 1-line block ×4, first 2 shown]
	v_pack_b32_f16 v82, v82, v83
	v_sub_f16_e32 v20, v12, v19
	v_pack_b32_f16 v74, v74, v80
	v_pack_b32_f16 v6, v6, v70
	v_sub_f16_e32 v70, v17, v69
	v_pack_b32_f16 v75, v75, v81
	v_pack_b32_f16 v76, v76, v77
	ds_store_2addr_b32 v62, v82, v74 offset1:26
	ds_store_2addr_b32 v62, v75, v73 offset0:52 offset1:78
	ds_store_2addr_b32 v62, v76, v6 offset0:104 offset1:130
	s_and_saveexec_b32 s10, s1
	s_cbranch_execz .LBB0_15
; %bb.14:
	v_mul_f16_e32 v6, 0x3aee, v25
	v_mul_f16_e32 v25, 0x3aee, v26
	;; [unrolled: 1-line block ×3, first 2 shown]
	v_add_f16_e32 v26, v28, v68
	v_mul_f16_e32 v21, 0x3aee, v21
	v_add_f16_e32 v6, v6, v71
	v_sub_f16_e32 v25, v72, v25
	v_add_f16_e32 v5, v5, v30
	v_sub_f16_e32 v23, v24, v23
	v_add_f16_e32 v4, v4, v18
	v_mul_f16_e32 v24, 0x3aee, v6
	v_mul_f16_e32 v28, 0x3aee, v25
	v_add_f16_e32 v5, v5, v27
	v_add_f16_e32 v26, v26, v29
	;; [unrolled: 1-line block ×3, first 2 shown]
	v_fma_f16 v21, v25, 0.5, -v24
	v_fmac_f16_e32 v28, 0.5, v6
	v_add_f16_e32 v6, v7, v22
	v_add_f16_e32 v4, v4, v14
	v_sub_f16_e32 v7, v5, v26
	v_sub_f16_e32 v18, v23, v21
	;; [unrolled: 1-line block ×3, first 2 shown]
	v_add_f16_e32 v6, v6, v15
	v_add_f16_e32 v14, v17, v69
	v_add_f16_e32 v15, v23, v21
	v_add_f16_e32 v5, v5, v26
	v_and_b32_e32 v17, 0xffff, v45
	v_add_f16_e32 v21, v4, v6
	v_add_f16_e32 v13, v13, v28
	;; [unrolled: 1-line block ×3, first 2 shown]
	v_sub_f16_e32 v4, v4, v6
	v_lshlrev_b32_e32 v6, 2, v17
	v_pack_b32_f16 v5, v21, v5
	v_pack_b32_f16 v13, v13, v15
	v_pack_b32_f16 v12, v12, v14
	v_pack_b32_f16 v4, v4, v7
	v_pack_b32_f16 v7, v22, v18
	v_perm_b32 v14, v70, v20, 0x5040100
	ds_store_2addr_b32 v6, v5, v13 offset1:26
	ds_store_2addr_b32 v6, v12, v4 offset0:52 offset1:78
	ds_store_2addr_b32 v6, v7, v14 offset0:104 offset1:130
.LBB0_15:
	s_wait_alu 0xfffe
	s_or_b32 exec_lo, exec_lo, s10
	v_mad_co_u64_u32 v[17:18], null, v32, 40, s[2:3]
	global_wb scope:SCOPE_SE
	s_wait_dscnt 0x0
	s_barrier_signal -1
	s_barrier_wait -1
	global_inv scope:SCOPE_SE
	v_add_nc_u32_e32 v90, 0x400, v31
	v_add_nc_u32_e32 v23, 0xc00, v31
	s_clause 0x2
	global_load_b128 v[12:15], v[17:18], off offset:572
	global_load_b128 v[4:7], v[17:18], off offset:588
	global_load_b64 v[17:18], v[17:18], off offset:604
	ds_load_2addr_b32 v[21:22], v31 offset1:156
	v_add_nc_u32_e32 v24, 0x1000, v31
	v_add_nc_u32_e32 v68, 0x1500, v31
	ds_load_b32 v19, v31 offset:2496
	ds_load_2addr_b32 v[29:30], v90 offset0:56 offset1:212
	ds_load_2addr_b32 v[27:28], v23 offset0:12 offset1:168
	;; [unrolled: 1-line block ×4, first 2 shown]
	v_add_nc_u32_e32 v91, 0xe00, v31
	v_add_nc_u32_e32 v92, 0x1200, v31
	s_wait_dscnt 0x5
	v_lshrrev_b32_e32 v80, 16, v22
	v_lshrrev_b32_e32 v79, 16, v21
	s_wait_dscnt 0x4
	v_lshrrev_b32_e32 v81, 16, v19
	s_wait_dscnt 0x3
	;; [unrolled: 2-line block ×3, first 2 shown]
	v_lshrrev_b32_e32 v88, 16, v23
	v_lshrrev_b32_e32 v89, 16, v24
	;; [unrolled: 1-line block ×7, first 2 shown]
	s_wait_loadcnt 0x2
	v_lshrrev_b32_e32 v78, 16, v12
	v_lshrrev_b32_e32 v77, 16, v13
	;; [unrolled: 1-line block ×3, first 2 shown]
	s_wait_loadcnt 0x0
	v_lshrrev_b32_e32 v68, 16, v17
	v_lshrrev_b32_e32 v69, 16, v18
	v_mul_f16_e32 v93, v80, v78
	v_mul_f16_e32 v94, v22, v78
	v_lshrrev_b32_e32 v75, 16, v15
	v_lshrrev_b32_e32 v74, 16, v4
	;; [unrolled: 1-line block ×5, first 2 shown]
	v_mul_f16_e32 v95, v82, v77
	v_mul_f16_e32 v96, v29, v77
	;; [unrolled: 1-line block ×6, first 2 shown]
	v_fma_f16 v22, v22, v12, -v93
	v_fmac_f16_e32 v94, v80, v12
	v_mul_f16_e32 v97, v83, v76
	v_mul_f16_e32 v99, v81, v75
	;; [unrolled: 1-line block ×12, first 2 shown]
	v_fma_f16 v29, v29, v13, -v95
	v_fmac_f16_e32 v96, v82, v13
	v_fmac_f16_e32 v98, v83, v14
	v_fma_f16 v83, v23, v17, -v109
	v_fma_f16 v93, v24, v18, -v111
	v_fmac_f16_e32 v112, v89, v18
	v_add_f16_e32 v23, v21, v22
	v_add_f16_e32 v24, v79, v94
	v_fma_f16 v30, v30, v14, -v97
	v_fma_f16 v19, v19, v15, -v99
	v_fmac_f16_e32 v100, v81, v15
	v_fma_f16 v27, v27, v4, -v101
	v_fmac_f16_e32 v102, v84, v4
	;; [unrolled: 2-line block ×5, first 2 shown]
	v_fmac_f16_e32 v110, v88, v17
	v_add_f16_e32 v80, v22, v93
	v_sub_f16_e32 v22, v22, v93
	v_sub_f16_e32 v82, v94, v112
	v_add_f16_e32 v23, v23, v29
	v_add_f16_e32 v24, v24, v96
	;; [unrolled: 1-line block ×5, first 2 shown]
	v_sub_f16_e32 v86, v29, v83
	v_sub_f16_e32 v87, v96, v110
	;; [unrolled: 1-line block ×8, first 2 shown]
	v_mul_f16_e32 v29, 0xb853, v82
	v_mul_f16_e32 v96, 0xb853, v22
	;; [unrolled: 1-line block ×9, first 2 shown]
	v_add_f16_e32 v23, v23, v30
	v_add_f16_e32 v24, v24, v98
	;; [unrolled: 1-line block ×8, first 2 shown]
	v_mul_f16_e32 v22, 0xb482, v22
	v_mul_f16_e32 v119, 0xbb47, v87
	;; [unrolled: 1-line block ×12, first 2 shown]
	v_mul_f16_e64 v128, 0xbbeb, v94
	v_mul_f16_e64 v129, 0x3482, v95
	;; [unrolled: 1-line block ×7, first 2 shown]
	v_mul_f16_e32 v95, 0xba0c, v95
	v_mul_f16_e32 v94, 0xba0c, v94
	v_mul_f16_e64 v135, 0xba0c, v101
	v_mul_f16_e64 v136, 0xba0c, v99
	;; [unrolled: 1-line block ×6, first 2 shown]
	v_mul_f16_e32 v101, 0x3b47, v101
	v_mul_f16_e64 v141, 0xb853, v99
	v_mul_f16_e64 v142, 0xb482, v99
	v_mul_f16_e32 v99, 0x3b47, v99
	v_mul_f16_e64 v143, 0xb482, v105
	v_mul_f16_e64 v144, 0x3853, v105
	;; [unrolled: 1-line block ×4, first 2 shown]
	v_mul_f16_e32 v105, 0xbbeb, v105
	v_mul_f16_e64 v147, 0xb482, v109
	v_mul_f16_e64 v148, 0x3853, v109
	;; [unrolled: 1-line block ×4, first 2 shown]
	v_mul_f16_e32 v109, 0xbbeb, v109
	v_fma_f16 v30, v80, 0x3abb, -v29
	v_fmamk_f16 v98, v81, 0x3abb, v96
	v_fmac_f16_e32 v29, 0x3abb, v80
	v_fma_f16 v96, v81, 0x3abb, -v96
	v_fma_f16 v151, v80, 0x36a6, -v113
	v_fma_f16 v152, 0x36a6, v81, v114
	v_fmac_f16_e32 v113, 0x36a6, v80
	v_fma_f16 v114, v81, 0x36a6, -v114
	v_fma_f16 v153, v80, 0xb08e, -v115
	v_fma_f16 v154, 0xb08e, v81, v116
	;; [unrolled: 4-line block ×3, first 2 shown]
	v_fmac_f16_e32 v117, 0xb93d, v80
	v_fma_f16 v157, v80, 0xbbad, -v82
	v_fmac_f16_e32 v82, 0xbbad, v80
	v_add_f16_e32 v19, v23, v19
	v_add_f16_e32 v23, v24, v100
	v_fma_f16 v118, v81, 0xb93d, -v118
	v_fma_f16 v158, 0xbbad, v81, v22
	v_fma_f16 v22, v81, 0xbbad, -v22
	v_fma_f16 v80, v84, 0x36a6, -v119
	v_fmamk_f16 v81, v85, 0x36a6, v120
	v_fmac_f16_e32 v119, 0x36a6, v84
	v_fma_f16 v120, v85, 0x36a6, -v120
	v_fma_f16 v159, v84, 0xb93d, -v121
	v_fma_f16 v160, 0xb93d, v85, v122
	v_fmac_f16_e32 v121, 0xb93d, v84
	v_fma_f16 v122, v85, 0xb93d, -v122
	v_fma_f16 v161, v84, 0xbbad, -v123
	v_fma_f16 v162, 0xbbad, v85, v124
	;; [unrolled: 4-line block ×6, first 2 shown]
	v_fmac_f16_e64 v129, 0xbbad, v88
	v_fma_f16 v130, v89, 0xbbad, -v130
	v_fma_f16 v169, v88, 0x36a6, -v131
	v_fma_f16 v170, 0x36a6, v89, v132
	v_fmac_f16_e64 v131, 0x36a6, v88
	v_fma_f16 v132, v89, 0x36a6, -v132
	v_fma_f16 v171, v88, 0x3abb, -v133
	v_fma_f16 v172, 0x3abb, v89, v134
	;; [unrolled: 4-line block ×3, first 2 shown]
	v_fmac_f16_e32 v95, 0xb93d, v88
	v_fma_f16 v88, v89, 0xb93d, -v94
	v_fma_f16 v89, v97, 0xb93d, -v135
	v_fmac_f16_e64 v135, 0xb93d, v97
	v_fma_f16 v94, v97, 0xb08e, -v137
	v_fmac_f16_e64 v137, 0xb08e, v97
	;; [unrolled: 2-line block ×4, first 2 shown]
	v_fma_f16 v177, v97, 0x36a6, -v101
	v_fmac_f16_e32 v101, 0x36a6, v97
	v_fma_f16 v97, 0xb93d, v103, v136
	v_fma_f16 v136, v103, 0xb93d, -v136
	v_fma_f16 v178, 0xb08e, v103, v138
	v_fma_f16 v138, v103, 0xb08e, -v138
	v_fma_f16 v179, 0x3abb, v103, v141
	v_fma_f16 v141, v103, 0x3abb, -v141
	v_fma_f16 v180, 0xbbad, v103, v142
	v_fma_f16 v142, v103, 0xbbad, -v142
	v_fma_f16 v181, 0x36a6, v103, v99
	v_fma_f16 v99, v103, 0x36a6, -v99
	v_fma_f16 v103, v107, 0xbbad, -v143
	v_fmac_f16_e64 v143, 0xbbad, v107
	v_fma_f16 v182, v107, 0x3abb, -v144
	v_fmac_f16_e64 v144, 0x3abb, v107
	;; [unrolled: 2-line block ×4, first 2 shown]
	v_fma_f16 v185, v107, 0xb08e, -v105
	v_fmac_f16_e32 v105, 0xb08e, v107
	v_fma_f16 v107, 0xbbad, v111, v147
	v_fma_f16 v147, v111, 0xbbad, -v147
	v_fma_f16 v186, 0x3abb, v111, v148
	v_fma_f16 v148, v111, 0x3abb, -v148
	;; [unrolled: 2-line block ×5, first 2 shown]
	v_add_f16_e32 v30, v21, v30
	v_add_f16_e32 v29, v21, v29
	v_add_f16_e64 v111, v21, v151
	v_add_f16_e32 v113, v21, v113
	v_add_f16_e64 v151, v21, v153
	;; [unrolled: 2-line block ×4, first 2 shown]
	v_add_f16_e32 v21, v21, v82
	v_add_f16_e32 v24, v79, v98
	;; [unrolled: 1-line block ×3, first 2 shown]
	v_add_f16_e64 v96, v79, v152
	v_add_f16_e32 v98, v79, v114
	v_add_f16_e64 v100, v79, v154
	v_add_f16_e32 v114, v79, v116
	;; [unrolled: 2-line block ×3, first 2 shown]
	v_add_f16_e32 v23, v23, v102
	v_add_f16_e32 v118, v79, v118
	v_add_f16_e64 v152, v79, v158
	v_add_f16_e32 v22, v79, v22
	v_add_f16_e32 v27, v80, v30
	;; [unrolled: 1-line block ×5, first 2 shown]
	v_add_f16_e64 v79, v159, v111
	v_add_f16_e64 v80, v160, v96
	v_add_f16_e32 v81, v121, v113
	v_add_f16_e32 v82, v122, v98
	v_add_f16_e64 v96, v161, v151
	v_add_f16_e64 v98, v162, v100
	v_add_f16_e32 v102, v124, v114
	v_add_f16_e64 v113, v164, v116
	v_add_f16_e32 v114, v125, v117
	;; [unrolled: 2-line block ×3, first 2 shown]
	v_add_f16_e32 v19, v19, v28
	v_add_f16_e32 v23, v23, v104
	;; [unrolled: 1-line block ×6, first 2 shown]
	v_add_f16_e64 v29, v128, v30
	v_add_f16_e64 v30, v167, v79
	;; [unrolled: 1-line block ×11, first 2 shown]
	v_add_f16_e32 v21, v95, v21
	v_add_f16_e32 v19, v19, v25
	;; [unrolled: 1-line block ×3, first 2 shown]
	v_add_f16_e64 v111, v163, v153
	v_add_f16_e32 v100, v123, v115
	v_add_f16_e32 v115, v126, v118
	v_add_f16_e64 v117, v166, v152
	v_add_f16_e32 v22, v88, v22
	v_add_f16_e32 v25, v89, v27
	v_add_f16_e64 v95, v180, v96
	v_add_f16_e64 v96, v140, v98
	v_add_f16_e64 v98, v177, v102
	v_add_f16_e32 v21, v101, v21
	v_add_f16_e32 v101, v19, v26
	;; [unrolled: 1-line block ×3, first 2 shown]
	v_add_f16_e64 v87, v171, v111
	v_add_f16_e64 v85, v131, v100
	;; [unrolled: 1-line block ×6, first 2 shown]
	v_add_f16_e32 v29, v94, v30
	v_add_f16_e64 v30, v178, v79
	v_add_f16_e64 v82, v175, v82
	;; [unrolled: 1-line block ×3, first 2 shown]
	v_add_f16_e32 v24, v97, v24
	v_add_f16_e32 v99, v99, v22
	;; [unrolled: 1-line block ×6, first 2 shown]
	v_add_f16_e64 v80, v137, v80
	v_add_f16_e64 v81, v138, v81
	v_add_f16_e64 v86, v141, v86
	v_add_f16_e64 v94, v176, v87
	v_add_f16_e64 v85, v139, v85
	v_add_f16_e64 v97, v142, v100
	v_add_f16_e64 v100, v181, v104
	v_add_f16_e64 v19, v143, v27
	v_add_f16_e64 v79, v147, v28
	v_add_f16_e64 v27, v182, v29
	v_add_f16_e64 v88, v186, v30
	v_add_f16_e64 v28, v183, v82
	v_add_f16_e64 v87, v187, v84
	v_add_f16_e32 v89, v107, v24
	v_add_f16_e32 v21, v21, v93
	;; [unrolled: 1-line block ×3, first 2 shown]
	v_add_f16_e64 v24, v144, v80
	v_add_f16_e64 v80, v148, v81
	;; [unrolled: 1-line block ×10, first 2 shown]
	v_add_f16_e32 v84, v109, v99
	v_pack_b32_f16 v95, v27, v88
	v_pack_b32_f16 v96, v28, v87
	;; [unrolled: 1-line block ×11, first 2 shown]
	ds_store_2addr_b32 v90, v95, v96 offset0:56 offset1:212
	ds_store_2addr_b32 v31, v100, v94 offset1:156
	ds_store_b32 v31, v93 offset:2496
	ds_store_b32 v31, v97 offset:3120
	ds_store_2addr_b32 v91, v98, v99 offset0:40 offset1:196
	ds_store_2addr_b32 v92, v101, v102 offset0:96 offset1:252
	ds_store_b32 v31, v103 offset:6240
	global_wb scope:SCOPE_SE
	s_wait_dscnt 0x0
	s_barrier_signal -1
	s_barrier_wait -1
	global_inv scope:SCOPE_SE
	s_and_saveexec_b32 s10, vcc_lo
	s_cbranch_execz .LBB0_17
; %bb.16:
	global_load_b32 v90, v31, s[20:21] offset:6864
	s_add_nc_u64 s[2:3], s[20:21], 0x1ad0
	s_clause 0xb
	global_load_b32 v105, v31, s[2:3] offset:528
	global_load_b32 v106, v31, s[2:3] offset:1056
	;; [unrolled: 1-line block ×12, first 2 shown]
	ds_load_b32 v93, v31
	v_add_nc_u32_e32 v117, 0x200, v31
	v_add_nc_u32_e32 v118, 0x600, v31
	;; [unrolled: 1-line block ×3, first 2 shown]
	s_wait_dscnt 0x0
	v_lshrrev_b32_e32 v94, 16, v93
	s_wait_loadcnt 0xb
	v_lshrrev_b32_e32 v120, 16, v105
	s_wait_loadcnt 0xa
	;; [unrolled: 2-line block ×8, first 2 shown]
	v_lshrrev_b32_e32 v127, 16, v112
	v_lshrrev_b32_e32 v95, 16, v90
	s_wait_loadcnt 0x3
	v_lshrrev_b32_e32 v128, 16, v113
	s_wait_loadcnt 0x2
	;; [unrolled: 2-line block ×4, first 2 shown]
	v_lshrrev_b32_e32 v131, 16, v116
	v_mul_f16_e32 v96, v94, v95
	v_mul_f16_e32 v95, v93, v95
	s_delay_alu instid0(VALU_DEP_2) | instskip(NEXT) | instid1(VALU_DEP_2)
	v_fma_f16 v93, v93, v90, -v96
	v_fmac_f16_e32 v95, v94, v90
	s_delay_alu instid0(VALU_DEP_1)
	v_pack_b32_f16 v90, v93, v95
	ds_store_b32 v31, v90
	v_add_nc_u32_e32 v90, 0xa00, v31
	ds_load_2addr_b32 v[93:94], v117 offset0:4 offset1:136
	ds_load_2addr_b32 v[95:96], v118 offset0:12 offset1:144
	;; [unrolled: 1-line block ×6, first 2 shown]
	s_wait_dscnt 0x5
	v_lshrrev_b32_e32 v132, 16, v93
	v_lshrrev_b32_e32 v134, 16, v94
	s_wait_dscnt 0x4
	v_lshrrev_b32_e32 v136, 16, v95
	v_lshrrev_b32_e32 v138, 16, v96
	;; [unrolled: 3-line block ×3, first 2 shown]
	v_lshrrev_b32_e32 v144, 16, v99
	v_lshrrev_b32_e32 v146, 16, v100
	;; [unrolled: 1-line block ×4, first 2 shown]
	v_mul_f16_e64 v133, v93, v120
	v_mul_f16_e64 v135, v94, v121
	s_wait_dscnt 0x0
	v_lshrrev_b32_e32 v152, 16, v103
	v_lshrrev_b32_e32 v154, 16, v104
	v_mul_f16_e64 v120, v132, v120
	v_mul_f16_e64 v121, v134, v121
	;; [unrolled: 1-line block ×20, first 2 shown]
	v_fmac_f16_e64 v133, v132, v105
	v_fmac_f16_e64 v135, v134, v106
	v_mul_f16_e64 v130, v152, v130
	v_mul_f16_e64 v131, v154, v131
	v_fma_f16 v93, v93, v105, -v120
	v_fma_f16 v94, v94, v106, -v121
	v_fmac_f16_e64 v137, v136, v107
	v_fmac_f16_e64 v139, v138, v108
	v_fma_f16 v95, v95, v107, -v122
	v_fma_f16 v96, v96, v108, -v123
	v_fmac_f16_e64 v141, v140, v109
	v_fmac_f16_e64 v143, v142, v110
	;; [unrolled: 4-line block ×5, first 2 shown]
	v_fma_f16 v103, v103, v115, -v130
	v_fma_f16 v104, v104, v116, -v131
	v_pack_b32_f16 v93, v93, v133
	v_pack_b32_f16 v94, v94, v135
	v_pack_b32_f16 v95, v95, v137
	v_pack_b32_f16 v96, v96, v139
	v_pack_b32_f16 v97, v97, v141
	v_pack_b32_f16 v98, v98, v143
	v_pack_b32_f16 v99, v99, v145
	v_pack_b32_f16 v100, v100, v147
	v_pack_b32_f16 v101, v101, v149
	v_pack_b32_f16 v102, v102, v151
	v_pack_b32_f16 v103, v103, v153
	v_pack_b32_f16 v104, v104, v155
	ds_store_2addr_b32 v117, v93, v94 offset0:4 offset1:136
	ds_store_2addr_b32 v118, v95, v96 offset0:12 offset1:144
	;; [unrolled: 1-line block ×6, first 2 shown]
.LBB0_17:
	s_wait_alu 0xfffe
	s_or_b32 exec_lo, exec_lo, s10
	global_wb scope:SCOPE_SE
	s_wait_dscnt 0x0
	s_barrier_signal -1
	s_barrier_wait -1
	global_inv scope:SCOPE_SE
	s_and_saveexec_b32 s2, vcc_lo
	s_cbranch_execz .LBB0_19
; %bb.18:
	v_add_nc_u32_e32 v19, 0x400, v31
	v_add_nc_u32_e32 v20, 0x800, v31
	;; [unrolled: 1-line block ×3, first 2 shown]
	ds_load_2addr_b32 v[21:22], v31 offset1:132
	ds_load_2addr_b32 v[27:28], v19 offset0:8 offset1:140
	v_add_nc_u32_e32 v19, 0x1000, v31
	ds_load_2addr_b32 v[29:30], v20 offset0:16 offset1:148
	v_add_nc_u32_e32 v20, 0x1400, v31
	ds_load_2addr_b32 v[25:26], v23 offset0:24 offset1:156
	ds_load_2addr_b32 v[23:24], v19 offset0:32 offset1:164
	;; [unrolled: 1-line block ×3, first 2 shown]
	ds_load_b32 v34, v31 offset:6336
	s_wait_dscnt 0x6
	v_lshrrev_b32_e32 v83, 16, v21
	v_lshrrev_b32_e32 v89, 16, v22
	s_wait_dscnt 0x5
	v_lshrrev_b32_e32 v88, 16, v27
	v_lshrrev_b32_e32 v87, 16, v28
	;; [unrolled: 3-line block ×6, first 2 shown]
	s_wait_dscnt 0x0
	v_lshrrev_b32_e32 v35, 16, v34
.LBB0_19:
	s_wait_alu 0xfffe
	s_or_b32 exec_lo, exec_lo, s2
	s_delay_alu instid0(VALU_DEP_1)
	v_sub_f16_e32 v104, v89, v35
	v_add_f16_e32 v108, v35, v89
	v_add_f16_e32 v94, v34, v22
	v_sub_f16_e32 v105, v88, v70
	v_sub_f16_e32 v96, v22, v34
	v_mul_f16_e32 v112, 0xba95, v104
	v_mul_f16_e32 v116, 0x388b, v108
	v_add_f16_e32 v95, v20, v27
	v_add_f16_e32 v111, v70, v88
	v_mul_f16_e32 v124, 0xbbf1, v104
	v_fma_f16 v90, v94, 0x388b, -v112
	v_mul_f16_e64 v128, 0x2fb7, v108
	v_mul_f16_e32 v114, 0xbb7b, v105
	v_fmamk_f16 v91, v96, 0xba95, v116
	v_fma_f16 v92, v94, 0x2fb7, -v124
	v_add_f16_e32 v90, v21, v90
	v_fma_f16 v93, 0xbbf1, v96, v128
	v_fma_f16 v98, v95, 0xb5ac, -v114
	v_sub_f16_e32 v97, v27, v20
	v_mul_f16_e32 v122, 0xb5ac, v111
	v_sub_f16_e32 v109, v87, v79
	v_mul_f16_e64 v129, 0xb3a8, v105
	v_mul_f16_e64 v133, 0xbbc4, v111
	v_add_f16_e32 v115, v79, v87
	v_add_f16_e32 v91, v83, v91
	;; [unrolled: 1-line block ×5, first 2 shown]
	v_fmamk_f16 v100, v97, 0xbb7b, v122
	v_add_f16_e32 v98, v19, v28
	v_mul_f16_e32 v118, 0xb3a8, v109
	v_fma_f16 v101, v95, 0xbbc4, -v129
	v_fma_f16 v102, 0xb3a8, v97, v133
	v_sub_f16_e32 v99, v28, v19
	v_mul_f16_e32 v125, 0xbbc4, v115
	v_add_f16_e32 v120, v80, v86
	v_fma_f16 v103, v98, 0xbbc4, -v118
	v_add_f16_e32 v91, v100, v91
	v_add_f16_e32 v92, v101, v92
	;; [unrolled: 1-line block ×3, first 2 shown]
	v_fmamk_f16 v102, v99, 0xb3a8, v125
	v_sub_f16_e32 v110, v86, v80
	v_mul_f16_e64 v131, 0x3b7b, v109
	v_mul_f16_e64 v136, 0xb5ac, v115
	v_sub_f16_e32 v101, v29, v24
	v_mul_f16_e32 v127, 0xb9fd, v120
	v_add_f16_e32 v90, v103, v90
	v_add_f16_e32 v100, v24, v29
	v_mul_f16_e32 v123, 0x394e, v110
	v_fma_f16 v103, v98, 0xb5ac, -v131
	v_fma_f16 v106, 0x3b7b, v99, v136
	v_add_f16_e32 v91, v102, v91
	v_fmamk_f16 v102, v101, 0x394e, v127
	v_mul_f16_e64 v134, 0x3770, v110
	v_sub_f16_e32 v113, v85, v81
	v_fma_f16 v107, v100, 0xb9fd, -v123
	v_add_f16_e32 v92, v103, v92
	v_add_f16_e32 v93, v106, v93
	;; [unrolled: 1-line block ×4, first 2 shown]
	v_fma_f16 v106, v100, 0x3b15, -v134
	v_add_f16_e32 v102, v23, v30
	v_mul_f16_e32 v126, 0x3bf1, v113
	v_mul_f16_e64 v137, 0xba95, v113
	v_add_f16_e32 v90, v107, v90
	v_mul_f16_e64 v138, 0x3b15, v120
	v_sub_f16_e32 v103, v30, v23
	v_mul_f16_e64 v132, 0x2fb7, v121
	v_fma_f16 v117, v102, 0x2fb7, -v126
	v_add_f16_e32 v92, v106, v92
	v_fma_f16 v119, v102, 0x388b, -v137
	v_fma_f16 v107, 0x3770, v101, v138
	v_fma_f16 v106, 0x3bf1, v103, v132
	v_add_f16_e32 v90, v117, v90
	v_mul_f16_e64 v140, 0x388b, v121
	v_add_f16_e64 v142, v119, v92
	v_sub_f16_e32 v117, v84, v82
	v_add_f16_e32 v119, v82, v84
	v_add_f16_e32 v93, v107, v93
	;; [unrolled: 1-line block ×3, first 2 shown]
	v_fma_f16 v92, 0xba95, v103, v140
	v_add_f16_e32 v106, v26, v25
	v_sub_f16_e32 v107, v25, v26
	v_mul_f16_e64 v130, 0x3770, v117
	v_mul_f16_e64 v135, 0x3b15, v119
	;; [unrolled: 1-line block ×4, first 2 shown]
	v_add_f16_e64 v143, v92, v93
	v_fma_f16 v92, v106, 0x3b15, -v130
	v_fma_f16 v93, 0x3770, v107, v135
	v_fma_f16 v144, v106, 0xb9fd, -v139
	v_fma_f16 v145, 0xb94e, v107, v141
	global_wb scope:SCOPE_SE
	v_add_f16_e32 v92, v92, v90
	v_add_f16_e32 v93, v93, v91
	v_add_f16_e64 v90, v144, v142
	v_add_f16_e64 v91, v145, v143
	s_barrier_signal -1
	s_barrier_wait -1
	global_inv scope:SCOPE_SE
	s_and_saveexec_b32 s2, vcc_lo
	s_cbranch_execz .LBB0_21
; %bb.20:
	v_mul_f16_e64 v156, 0xbb7b, v96
	v_mul_f16_e64 v162, 0x394e, v97
	;; [unrolled: 1-line block ×5, first 2 shown]
	v_fma_f16 v161, 0xb5ac, v108, v156
	v_fma_f16 v166, 0xb9fd, v111, v162
	v_mul_f16_e64 v178, 0x3a95, v107
	v_mul_f16_e64 v170, 0xbb7b, v104
	;; [unrolled: 1-line block ×3, first 2 shown]
	v_add_f16_e64 v161, v83, v161
	v_mul_f16_e64 v174, 0x394e, v105
	v_mul_f16_e64 v182, 0x3bf1, v97
	v_fma_f16 v173, v94, 0xb5ac, -v170
	v_mul_f16_e64 v177, 0x3770, v109
	v_add_f16_e64 v161, v166, v161
	v_fma_f16 v166, 0x3b15, v115, v167
	v_fma_f16 v176, v95, 0xb9fd, -v174
	v_add_f16_e64 v173, v21, v173
	v_fma_f16 v184, 0x2fb7, v111, v182
	v_mul_f16_e64 v185, 0xba95, v99
	v_add_f16_e64 v161, v166, v161
	v_fma_f16 v166, 0x2fb7, v120, v171
	v_add_f16_e64 v173, v176, v173
	v_fma_f16 v176, v98, 0x3b15, -v177
	v_mul_f16_e64 v179, 0xbbf1, v110
	v_mul_f16_e64 v143, 0xba95, v96
	v_add_f16_e64 v161, v166, v161
	v_fma_f16 v166, 0xbbc4, v121, v175
	v_mul_f16_e64 v187, 0x33a8, v101
	v_add_f16_e64 v173, v176, v173
	v_fma_f16 v176, v100, 0x2fb7, -v179
	v_mul_f16_e64 v181, 0x33a8, v113
	v_add_f16_e64 v161, v166, v161
	v_fma_f16 v166, 0x388b, v119, v178
	v_mul_f16_e64 v147, 0xbb7b, v97
	v_mul_f16_e64 v189, 0x3770, v103
	v_sub_f16_e64 v116, v116, v143
	v_add_f16_e64 v173, v176, v173
	v_add_f16_e64 v161, v166, v161
	v_fma_f16 v166, 0xb9fd, v108, v180
	v_fma_f16 v176, v102, 0xbbc4, -v181
	v_mul_f16_e64 v183, 0x3a95, v117
	v_mul_f16_e64 v142, 0x388b, v94
	;; [unrolled: 1-line block ×3, first 2 shown]
	v_add_f16_e64 v166, v83, v166
	v_mul_f16_e64 v192, 0xbb7b, v107
	v_add_f16_e32 v116, v83, v116
	v_sub_f16_e64 v122, v122, v147
	v_add_f16_e64 v173, v176, v173
	v_add_f16_e64 v166, v184, v166
	v_fma_f16 v184, 0x388b, v115, v185
	v_fma_f16 v176, v106, 0x388b, -v183
	v_mul_f16_e64 v186, 0xb94e, v104
	v_mul_f16_e64 v146, 0xb5ac, v95
	;; [unrolled: 1-line block ×3, first 2 shown]
	v_add_f16_e64 v166, v184, v166
	v_fma_f16 v184, 0xbbc4, v120, v187
	v_mul_f16_e64 v194, 0xb3a8, v96
	v_add_f16_e32 v116, v122, v116
	v_sub_f16_e64 v122, v125, v151
	v_add_f16_e64 v112, v142, v112
	v_add_f16_e64 v166, v184, v166
	v_fma_f16 v184, 0x3b15, v121, v189
	v_add_f16_e64 v173, v176, v173
	v_fma_f16 v176, v94, 0xb9fd, -v186
	v_mul_f16_e64 v188, 0x3bf1, v105
	v_mul_f16_e64 v150, 0xbbc4, v98
	v_add_f16_e64 v166, v184, v166
	v_fma_f16 v184, 0xb5ac, v119, v192
	v_mul_f16_e64 v160, 0x3bf1, v103
	v_mul_f16_e64 v196, 0x3770, v97
	v_fma_f16 v180, v108, 0xb9fd, -v180
	v_fma_f16 v156, v108, 0xb5ac, -v156
	v_add_f16_e64 v166, v184, v166
	v_fma_f16 v184, 0xbbc4, v108, v194
	v_fma_f16 v194, v108, 0xbbc4, -v194
	v_add_f16_e32 v116, v122, v116
	v_sub_f16_e64 v122, v127, v155
	v_add_f16_e32 v112, v21, v112
	v_add_f16_e64 v114, v146, v114
	v_mul_f16_e32 v108, 0x3b15, v108
	v_add_f16_e64 v176, v21, v176
	v_fma_f16 v190, v95, 0x2fb7, -v188
	v_mul_f16_e64 v191, 0xba95, v109
	v_mul_f16_e64 v154, 0xb9fd, v100
	v_mul_f16_e64 v168, 0x3770, v107
	v_add_f16_e64 v184, v83, v184
	v_fma_f16 v198, 0x3b15, v111, v196
	v_mul_f16_e64 v199, 0xb94e, v99
	v_add_f16_e64 v194, v83, v194
	v_fma_f16 v196, v111, 0x3b15, -v196
	v_add_f16_e64 v180, v83, v180
	v_fma_f16 v182, v111, 0x2fb7, -v182
	;; [unrolled: 2-line block ×3, first 2 shown]
	v_add_f16_e32 v116, v122, v116
	v_sub_f16_e64 v122, v132, v160
	v_add_f16_e32 v112, v114, v112
	v_add_f16_e64 v114, v150, v118
	v_fmamk_f16 v118, v96, 0x3770, v108
	v_mul_f16_e32 v111, 0x388b, v111
	v_add_f16_e64 v176, v190, v176
	v_fma_f16 v190, v98, 0x388b, -v191
	v_mul_f16_e64 v193, 0x33a8, v110
	v_mul_f16_e64 v159, 0x2fb7, v102
	v_add_f16_e64 v184, v198, v184
	v_fma_f16 v198, 0xb9fd, v115, v199
	v_mul_f16_e64 v201, 0x3a95, v101
	v_add_f16_e64 v194, v196, v194
	v_fma_f16 v196, v115, 0xb9fd, -v199
	v_add_f16_e64 v180, v182, v180
	v_fma_f16 v182, v115, 0x388b, -v185
	;; [unrolled: 2-line block ×3, first 2 shown]
	v_add_f16_e32 v116, v122, v116
	v_sub_f16_e64 v122, v135, v168
	v_add_f16_e32 v112, v114, v112
	v_add_f16_e64 v114, v154, v123
	v_add_f16_e32 v118, v83, v118
	v_fmamk_f16 v123, v97, 0x3a95, v111
	v_mul_f16_e32 v115, 0x2fb7, v115
	v_add_f16_e64 v176, v190, v176
	v_fma_f16 v190, v100, 0xbbc4, -v193
	v_mul_f16_e64 v195, 0x3770, v113
	v_mul_f16_e64 v165, 0x3b15, v106
	;; [unrolled: 1-line block ×3, first 2 shown]
	v_add_f16_e64 v184, v198, v184
	v_fma_f16 v198, 0x388b, v120, v201
	v_add_f16_e64 v194, v196, v194
	v_fma_f16 v196, v120, 0x388b, -v201
	v_add_f16_e64 v180, v182, v180
	v_fma_f16 v182, v120, 0xbbc4, -v187
	;; [unrolled: 2-line block ×3, first 2 shown]
	v_add_f16_e32 v116, v122, v116
	v_add_f16_e32 v112, v114, v112
	v_add_f16_e64 v114, v159, v126
	v_add_f16_e32 v118, v123, v118
	v_fmamk_f16 v122, v99, 0x3bf1, v115
	v_mul_f16_e32 v120, 0xb5ac, v120
	v_mul_f16_e32 v104, 0xb770, v104
	v_add_f16_e64 v176, v190, v176
	v_fma_f16 v190, v102, 0x3b15, -v195
	v_mul_f16_e64 v197, 0xbb7b, v117
	v_mul_f16_e64 v202, 0x3770, v105
	;; [unrolled: 1-line block ×3, first 2 shown]
	v_add_f16_e32 v112, v114, v112
	v_add_f16_e64 v114, v165, v130
	v_add_f16_e32 v118, v122, v118
	v_fmamk_f16 v122, v101, 0x3b7b, v120
	v_fmamk_f16 v123, v94, 0x3b15, v104
	v_mul_f16_e32 v105, 0xba95, v105
	v_add_f16_e32 v22, v22, v21
	v_add_f16_e32 v89, v89, v83
	v_add_f16_e64 v176, v190, v176
	v_fma_f16 v190, v106, 0xb5ac, -v197
	v_mul_f16_e64 v205, 0xb94e, v109
	v_add_f16_e64 v184, v198, v184
	v_fma_f16 v198, 0xb5ac, v121, v203
	v_add_f16_e64 v194, v196, v194
	v_fma_f16 v196, v121, 0xb5ac, -v203
	v_add_f16_e64 v180, v182, v180
	v_fma_f16 v182, v121, 0x3b15, -v189
	;; [unrolled: 2-line block ×3, first 2 shown]
	v_add_f16_e32 v112, v114, v112
	v_mul_f16_e32 v114, 0xb9fd, v121
	v_add_f16_e32 v118, v122, v118
	v_add_f16_e32 v121, v21, v123
	v_fmamk_f16 v122, v95, 0x388b, v105
	v_mul_f16_e32 v109, 0xbbf1, v109
	v_add_f16_e32 v22, v27, v22
	v_add_f16_e32 v27, v88, v89
	v_add_f16_e64 v176, v190, v176
	v_fma_f16 v190, v94, 0xbbc4, -v200
	v_mul_f16_e64 v207, 0x3a95, v110
	v_fmamk_f16 v123, v103, 0x394e, v114
	v_add_f16_e32 v121, v122, v121
	v_fmamk_f16 v122, v98, 0x2fb7, v109
	v_mul_f16_e32 v110, 0xbb7b, v110
	v_add_f16_e32 v22, v28, v22
	v_add_f16_e32 v27, v87, v27
	v_add_f16_e64 v190, v21, v190
	v_fma_f16 v204, v95, 0x3b15, -v202
	v_add_f16_e32 v88, v123, v118
	v_add_f16_e32 v89, v122, v121
	v_fmamk_f16 v118, v100, 0xb5ac, v110
	v_mul_f16_e32 v28, 0xb94e, v113
	v_add_f16_e32 v22, v29, v22
	v_add_f16_e32 v27, v86, v27
	v_mul_f16_e64 v206, 0x3bf1, v107
	v_add_f16_e64 v190, v204, v190
	v_fma_f16 v204, v98, 0xb9fd, -v205
	v_add_f16_e32 v89, v118, v89
	v_fmamk_f16 v29, v102, 0xb9fd, v28
	v_mul_f16_e32 v86, 0xb3a8, v117
	v_add_f16_e32 v22, v30, v22
	v_add_f16_e32 v27, v85, v27
	v_mul_f16_e64 v144, 0x2fb7, v94
	v_mul_f16_e64 v145, 0xbbf1, v96
	v_add_f16_e64 v184, v198, v184
	v_fma_f16 v198, 0x2fb7, v119, v206
	v_add_f16_e64 v190, v204, v190
	v_fma_f16 v204, v100, 0x388b, -v207
	v_mul_f16_e64 v208, 0xbb7b, v113
	v_add_f16_e32 v29, v29, v89
	v_fmamk_f16 v30, v106, 0xbbc4, v86
	v_add_f16_e32 v22, v25, v22
	v_add_f16_e32 v25, v84, v27
	v_mul_f16_e64 v148, 0xbbc4, v95
	v_mul_f16_e64 v149, 0xb3a8, v97
	v_sub_f16_e64 v128, v128, v145
	v_add_f16_e64 v124, v144, v124
	v_fmac_f16_e64 v186, 0xb9fd, v94
	v_fmac_f16_e64 v170, 0xb5ac, v94
	v_add_f16_e64 v184, v198, v184
	v_add_f16_e64 v190, v204, v190
	v_fma_f16 v198, v102, 0xb5ac, -v208
	v_mul_f16_e64 v204, 0x3bf1, v117
	v_fmac_f16_e64 v200, 0xbbc4, v94
	v_fmac_f16_e32 v108, 0xb770, v96
	v_add_f16_e32 v27, v30, v29
	v_fma_f16 v29, v94, 0x3b15, -v104
	v_add_f16_e32 v22, v26, v22
	v_add_f16_e32 v25, v82, v25
	v_mul_f16_e64 v152, 0xb5ac, v98
	v_mul_f16_e64 v153, 0x3b7b, v99
	v_add_f16_e64 v128, v83, v128
	v_sub_f16_e64 v133, v133, v149
	v_add_f16_e32 v124, v21, v124
	v_add_f16_e64 v129, v148, v129
	v_add_f16_e64 v186, v21, v186
	v_fmac_f16_e64 v188, 0x2fb7, v95
	v_add_f16_e64 v170, v21, v170
	v_fmac_f16_e64 v174, 0xb9fd, v95
	v_add_f16_e64 v190, v198, v190
	v_fma_f16 v198, v106, 0x2fb7, -v204
	v_add_f16_e64 v199, v21, v200
	v_fmac_f16_e64 v202, 0x3b15, v95
	v_add_f16_e32 v26, v83, v108
	v_fmac_f16_e32 v111, 0xba95, v97
	v_add_f16_e32 v21, v21, v29
	v_fma_f16 v29, v95, 0x388b, -v105
	v_add_f16_e32 v22, v23, v22
	v_add_f16_e32 v23, v81, v25
	v_mul_f16_e64 v157, 0x3b15, v100
	v_mul_f16_e64 v158, 0x3770, v101
	v_add_f16_e64 v128, v133, v128
	v_sub_f16_e64 v133, v136, v153
	v_add_f16_e64 v124, v129, v124
	v_add_f16_e64 v129, v152, v131
	;; [unrolled: 1-line block ×3, first 2 shown]
	v_fmac_f16_e64 v191, 0x388b, v98
	v_add_f16_e64 v170, v174, v170
	v_fmac_f16_e64 v177, 0x3b15, v98
	v_add_f16_e64 v190, v198, v190
	v_add_f16_e64 v198, v202, v199
	v_fmac_f16_e64 v205, 0xb9fd, v98
	v_add_f16_e32 v25, v111, v26
	v_fmac_f16_e32 v115, 0xbbf1, v99
	v_add_f16_e32 v21, v29, v21
	v_fma_f16 v26, v98, 0x2fb7, -v109
	v_add_f16_e32 v22, v24, v22
	v_add_f16_e32 v23, v80, v23
	v_mul_f16_e64 v163, 0x388b, v102
	v_mul_f16_e64 v164, 0xba95, v103
	v_add_f16_e64 v128, v133, v128
	v_sub_f16_e64 v133, v138, v158
	v_add_f16_e64 v124, v129, v124
	v_add_f16_e64 v129, v157, v134
	;; [unrolled: 1-line block ×3, first 2 shown]
	v_fmac_f16_e64 v193, 0xbbc4, v100
	v_add_f16_e64 v145, v177, v170
	v_fmac_f16_e64 v179, 0x2fb7, v100
	v_add_f16_e64 v198, v205, v198
	v_fmac_f16_e64 v207, 0x388b, v100
	v_mul_f16_e32 v87, 0xbbc4, v119
	v_add_f16_e32 v24, v115, v25
	v_fmac_f16_e32 v120, 0xbb7b, v101
	v_add_f16_e32 v21, v26, v21
	v_fma_f16 v25, v100, 0xb5ac, -v110
	v_add_f16_e32 v19, v19, v22
	v_add_f16_e32 v22, v79, v23
	v_mul_f16_e64 v169, 0xb9fd, v106
	v_mul_f16_e64 v172, 0xb94e, v107
	v_add_f16_e64 v128, v133, v128
	v_sub_f16_e64 v131, v140, v164
	v_add_f16_e64 v124, v129, v124
	v_add_f16_e64 v125, v163, v137
	;; [unrolled: 1-line block ×3, first 2 shown]
	v_fmac_f16_e64 v195, 0x3b15, v102
	v_add_f16_e64 v145, v179, v145
	v_fmac_f16_e64 v181, 0xbbc4, v102
	v_add_f16_e64 v185, v207, v198
	v_fmac_f16_e64 v208, 0xb5ac, v102
	v_fmamk_f16 v113, v107, 0x33a8, v87
	v_add_f16_e32 v23, v120, v24
	v_fmac_f16_e32 v114, 0xb94e, v103
	v_add_f16_e32 v21, v25, v21
	v_fma_f16 v24, v102, 0xb9fd, -v28
	v_add_f16_e32 v19, v20, v19
	v_add_f16_e32 v20, v70, v22
	v_add_f16_e64 v128, v131, v128
	v_sub_f16_e64 v131, v141, v172
	v_add_f16_e32 v124, v125, v124
	v_add_f16_e64 v125, v169, v139
	v_add_f16_e64 v180, v182, v180
	v_fma_f16 v182, v119, 0xb5ac, -v192
	v_add_f16_e64 v167, v195, v167
	v_fmac_f16_e64 v197, 0xb5ac, v106
	v_add_f16_e64 v156, v162, v156
	v_fma_f16 v162, v119, 0x388b, -v178
	v_add_f16_e64 v136, v181, v145
	v_fmac_f16_e64 v183, 0x388b, v106
	;; [unrolled: 4-line block ×3, first 2 shown]
	v_add_f16_e32 v85, v113, v88
	v_add_f16_e32 v22, v114, v23
	v_fmac_f16_e32 v87, 0xb3a8, v107
	v_add_f16_e32 v21, v24, v21
	v_fma_f16 v23, v106, 0xbbc4, -v86
	v_and_b32_e32 v24, 0xffff, v33
	v_add_f16_e32 v19, v34, v19
	v_add_f16_e32 v20, v35, v20
	v_add_f16_e64 v128, v131, v128
	v_add_f16_e32 v124, v125, v124
	v_add_f16_e64 v180, v182, v180
	v_add_f16_e64 v167, v197, v167
	v_add_f16_e64 v149, v162, v156
	v_add_f16_e64 v136, v183, v136
	v_add_f16_e64 v194, v196, v194
	v_add_f16_e64 v185, v204, v185
	v_add_f16_e32 v22, v87, v22
	v_add_f16_e32 v21, v23, v21
	v_lshlrev_b32_e32 v23, 2, v24
	v_pack_b32_f16 v24, v27, v85
	v_pack_b32_f16 v19, v19, v20
	;; [unrolled: 1-line block ×10, first 2 shown]
	v_perm_b32 v34, v93, v92, 0x5040100
	v_perm_b32 v35, v91, v90, 0x5040100
	v_pack_b32_f16 v21, v21, v22
	ds_store_2addr_b32 v23, v19, v24 offset1:1
	ds_store_2addr_b32 v23, v25, v20 offset0:2 offset1:3
	ds_store_2addr_b32 v23, v27, v26 offset0:4 offset1:5
	;; [unrolled: 1-line block ×5, first 2 shown]
	ds_store_b32 v23, v21 offset:48
.LBB0_21:
	s_wait_alu 0xfffe
	s_or_b32 exec_lo, exec_lo, s2
	v_add_nc_u32_e32 v19, 0x980, v31
	v_add_nc_u32_e32 v21, 0xf00, v31
	;; [unrolled: 1-line block ×4, first 2 shown]
	global_wb scope:SCOPE_SE
	s_wait_dscnt 0x0
	s_barrier_signal -1
	s_barrier_wait -1
	global_inv scope:SCOPE_SE
	ds_load_2addr_b32 v[23:24], v31 offset1:156
	ds_load_2addr_b32 v[19:20], v19 offset0:16 offset1:250
	ds_load_2addr_b32 v[27:28], v21 offset0:54 offset1:210
	;; [unrolled: 1-line block ×4, first 2 shown]
	s_and_saveexec_b32 s2, s0
	s_cbranch_execz .LBB0_23
; %bb.22:
	ds_load_b32 v90, v31 offset:3120
	ds_load_b32 v92, v31 offset:6552
	s_wait_dscnt 0x1
	v_lshrrev_b32_e32 v91, 16, v90
	s_wait_dscnt 0x0
	v_lshrrev_b32_e32 v93, 16, v92
.LBB0_23:
	s_wait_alu 0xfffe
	s_or_b32 exec_lo, exec_lo, s2
	s_wait_dscnt 0x2
	v_lshrrev_b32_e32 v34, 16, v27
	v_lshrrev_b32_e32 v30, 16, v20
	;; [unrolled: 1-line block ×3, first 2 shown]
	s_wait_dscnt 0x0
	v_lshrrev_b32_e32 v80, 16, v25
	v_lshrrev_b32_e32 v84, 16, v26
	v_mul_f16_e32 v83, v58, v34
	v_mul_f16_e32 v82, v57, v30
	;; [unrolled: 1-line block ×4, first 2 shown]
	v_lshrrev_b32_e32 v29, 16, v23
	v_fmac_f16_e32 v83, v44, v27
	v_mul_f16_e32 v27, v55, v70
	v_fmac_f16_e32 v82, v43, v20
	v_fma_f16 v20, v43, v30, -v57
	v_fma_f16 v30, v44, v34, -v58
	v_mul_f16_e32 v34, v55, v28
	v_mul_f16_e32 v43, v52, v80
	;; [unrolled: 1-line block ×3, first 2 shown]
	v_fmac_f16_e32 v27, v41, v28
	v_mul_f16_e32 v28, v51, v84
	v_fma_f16 v34, v41, v70, -v34
	v_fmac_f16_e32 v43, v40, v25
	v_fma_f16 v25, v40, v80, -v44
	v_mul_f16_e32 v40, v51, v26
	v_fmac_f16_e32 v28, v39, v26
	v_mul_f16_e32 v26, v50, v93
	v_mul_f16_e32 v41, v50, v92
	v_sub_f16_e32 v44, v23, v82
	v_lshrrev_b32_e32 v33, 16, v24
	v_lshrrev_b32_e32 v35, 16, v21
	;; [unrolled: 1-line block ×4, first 2 shown]
	v_fma_f16 v39, v39, v84, -v40
	v_fmac_f16_e32 v26, v38, v92
	v_fma_f16 v38, v38, v93, -v41
	v_fma_f16 v41, v23, 2.0, -v44
	v_sub_f16_e32 v23, v22, v43
	v_sub_f16_e32 v40, v29, v20
	;; [unrolled: 1-line block ×7, first 2 shown]
	v_fma_f16 v20, v22, 2.0, -v23
	v_sub_f16_e32 v22, v19, v28
	v_sub_f16_e32 v28, v81, v39
	v_fma_f16 v51, v29, 2.0, -v40
	v_sub_f16_e32 v26, v90, v26
	v_sub_f16_e32 v30, v91, v38
	v_fma_f16 v57, v24, 2.0, -v50
	v_fma_f16 v33, v33, 2.0, -v52
	v_fma_f16 v43, v21, 2.0, -v55
	v_fma_f16 v35, v35, 2.0, -v34
	v_fma_f16 v21, v79, 2.0, -v25
	v_fma_f16 v19, v19, 2.0, -v22
	v_fma_f16 v27, v81, 2.0, -v28
	v_fma_f16 v24, v90, 2.0, -v26
	v_fma_f16 v29, v91, 2.0, -v30
	v_pack_b32_f16 v38, v41, v51
	v_pack_b32_f16 v39, v44, v40
	;; [unrolled: 1-line block ×10, first 2 shown]
	global_wb scope:SCOPE_SE
	s_barrier_signal -1
	s_barrier_wait -1
	global_inv scope:SCOPE_SE
	ds_store_2addr_b32 v37, v38, v39 offset1:13
	ds_store_2addr_b32 v46, v33, v40 offset1:13
	;; [unrolled: 1-line block ×5, first 2 shown]
	s_and_saveexec_b32 s2, s0
	s_cbranch_execz .LBB0_25
; %bb.24:
	v_and_b32_e32 v33, 0xffff, v42
	v_perm_b32 v34, v29, v24, 0x5040100
	v_perm_b32 v35, v30, v26, 0x5040100
	s_delay_alu instid0(VALU_DEP_3)
	v_lshlrev_b32_e32 v33, 2, v33
	ds_store_2addr_b32 v33, v34, v35 offset1:13
.LBB0_25:
	s_wait_alu 0xfffe
	s_or_b32 exec_lo, exec_lo, s2
	global_wb scope:SCOPE_SE
	s_wait_dscnt 0x0
	s_barrier_signal -1
	s_barrier_wait -1
	global_inv scope:SCOPE_SE
	ds_load_b32 v33, v31
	ds_load_b32 v39, v31 offset:1144
	ds_load_b32 v38, v31 offset:2288
	;; [unrolled: 1-line block ×5, first 2 shown]
	s_and_saveexec_b32 s0, s1
	s_cbranch_execz .LBB0_27
; %bb.26:
	ds_load_b32 v20, v31 offset:624
	ds_load_b32 v23, v31 offset:1768
	;; [unrolled: 1-line block ×6, first 2 shown]
	s_wait_dscnt 0x5
	v_lshrrev_b32_e32 v21, 16, v20
	s_wait_dscnt 0x4
	v_lshrrev_b32_e32 v25, 16, v23
	;; [unrolled: 2-line block ×6, first 2 shown]
.LBB0_27:
	s_wait_alu 0xfffe
	s_or_b32 exec_lo, exec_lo, s0
	s_wait_dscnt 0x4
	v_lshrrev_b32_e32 v40, 16, v39
	s_wait_dscnt 0x3
	v_lshrrev_b32_e32 v42, 16, v38
	;; [unrolled: 2-line block ×4, first 2 shown]
	v_mul_f16_e32 v47, v67, v39
	v_mul_f16_e32 v46, v67, v40
	;; [unrolled: 1-line block ×4, first 2 shown]
	s_wait_dscnt 0x0
	v_lshrrev_b32_e32 v48, 16, v34
	v_lshrrev_b32_e32 v41, 16, v33
	v_fmac_f16_e32 v46, v8, v39
	v_mul_f16_e32 v39, v65, v43
	v_fmac_f16_e32 v49, v9, v38
	v_mul_f16_e32 v38, v64, v44
	v_fma_f16 v8, v8, v40, -v47
	v_mul_f16_e32 v40, v65, v37
	v_fmac_f16_e32 v39, v10, v37
	v_mul_f16_e32 v37, v64, v35
	v_fmac_f16_e32 v38, v11, v35
	v_fma_f16 v9, v9, v42, -v50
	v_mul_f16_e32 v35, v63, v48
	v_fma_f16 v10, v10, v43, -v40
	v_mul_f16_e32 v40, v63, v34
	v_fma_f16 v11, v11, v44, -v37
	v_add_f16_e32 v37, v49, v38
	v_fmac_f16_e32 v35, v61, v34
	v_add_f16_e32 v34, v33, v49
	v_fma_f16 v40, v61, v48, -v40
	v_add_f16_e32 v42, v9, v11
	v_fmac_f16_e32 v33, -0.5, v37
	v_sub_f16_e32 v37, v9, v11
	v_add_f16_e32 v9, v41, v9
	v_add_f16_e32 v34, v34, v38
	v_fmac_f16_e32 v41, -0.5, v42
	v_sub_f16_e32 v38, v49, v38
	v_fmamk_f16 v42, v37, 0xbaee, v33
	v_fmac_f16_e32 v33, 0x3aee, v37
	v_add_f16_e32 v37, v10, v40
	v_add_f16_e32 v43, v39, v35
	;; [unrolled: 1-line block ×4, first 2 shown]
	v_fmamk_f16 v11, v38, 0x3aee, v41
	v_fmac_f16_e32 v8, -0.5, v37
	v_sub_f16_e32 v37, v39, v35
	v_add_f16_e32 v39, v46, v39
	v_fmac_f16_e32 v46, -0.5, v43
	v_sub_f16_e32 v10, v10, v40
	v_fmac_f16_e32 v41, 0xbaee, v38
	v_fmamk_f16 v38, v37, 0x3aee, v8
	v_fmac_f16_e32 v8, 0xbaee, v37
	v_add_f16_e32 v35, v39, v35
	v_fmamk_f16 v37, v10, 0xbaee, v46
	v_fmac_f16_e32 v46, 0x3aee, v10
	v_mul_f16_e32 v10, 0xbaee, v38
	v_mul_f16_e32 v38, 0.5, v38
	v_mul_f16_e32 v39, 0xbaee, v8
	v_mul_f16_e32 v8, -0.5, v8
	v_add_f16_e32 v40, v44, v40
	v_fmac_f16_e32 v10, 0.5, v37
	v_fmac_f16_e32 v38, 0x3aee, v37
	v_fmac_f16_e32 v39, -0.5, v46
	v_fmac_f16_e32 v8, 0x3aee, v46
	v_add_f16_e32 v43, v34, v35
	v_add_f16_e32 v37, v42, v10
	;; [unrolled: 1-line block ×6, first 2 shown]
	v_sub_f16_e32 v34, v34, v35
	v_sub_f16_e32 v9, v9, v40
	;; [unrolled: 1-line block ×6, first 2 shown]
	v_pack_b32_f16 v35, v43, v46
	v_pack_b32_f16 v37, v37, v47
	;; [unrolled: 1-line block ×6, first 2 shown]
	global_wb scope:SCOPE_SE
	s_barrier_signal -1
	s_barrier_wait -1
	global_inv scope:SCOPE_SE
	ds_store_2addr_b32 v62, v35, v37 offset1:26
	ds_store_2addr_b32 v62, v38, v9 offset0:52 offset1:78
	ds_store_2addr_b32 v62, v10, v8 offset0:104 offset1:130
	s_and_saveexec_b32 s0, s1
	s_cbranch_execz .LBB0_29
; %bb.28:
	v_mul_f16_e32 v11, v60, v22
	v_mul_f16_e32 v33, v59, v26
	;; [unrolled: 1-line block ×7, first 2 shown]
	v_fma_f16 v11, v2, v28, -v11
	v_fma_f16 v30, v36, v30, -v33
	;; [unrolled: 1-line block ×4, first 2 shown]
	v_mul_f16_e32 v33, v56, v25
	v_fmac_f16_e32 v10, v2, v22
	v_fmac_f16_e32 v34, v36, v26
	v_fma_f16 v2, v0, v25, -v35
	v_add_f16_e32 v22, v30, v11
	v_mul_f16_e32 v25, v53, v27
	v_mul_f16_e32 v26, v54, v29
	v_add_f16_e32 v28, v9, v8
	v_fmac_f16_e32 v33, v0, v23
	v_fma_f16 v22, -0.5, v22, v2
	v_sub_f16_e32 v23, v10, v34
	v_fmac_f16_e32 v25, v1, v19
	v_fmac_f16_e32 v26, v3, v24
	v_add_f16_e32 v0, v34, v10
	v_fma_f16 v19, -0.5, v28, v21
	v_fmamk_f16 v3, v23, 0xbaee, v22
	v_fmac_f16_e32 v22, 0x3aee, v23
	v_sub_f16_e32 v23, v25, v26
	v_fma_f16 v0, -0.5, v0, v33
	v_sub_f16_e32 v1, v11, v30
	v_add_f16_e32 v21, v8, v21
	v_add_f16_e32 v2, v11, v2
	v_fmamk_f16 v28, v23, 0xbaee, v19
	v_fmac_f16_e32 v19, 0x3aee, v23
	v_add_f16_e32 v23, v26, v25
	v_fmamk_f16 v24, v1, 0x3aee, v0
	v_fmac_f16_e32 v0, 0xbaee, v1
	v_mul_f16_e32 v1, 0.5, v22
	v_sub_f16_e32 v8, v8, v9
	v_fma_f16 v11, -0.5, v23, v20
	v_add_f16_e32 v9, v9, v21
	v_mul_f16_e32 v21, 0xbaee, v22
	v_fmac_f16_e32 v1, 0x3aee, v0
	v_mul_f16_e32 v27, -0.5, v3
	v_fmamk_f16 v22, v8, 0x3aee, v11
	v_fmac_f16_e32 v11, 0xbaee, v8
	v_fmac_f16_e32 v21, 0.5, v0
	v_add_f16_e32 v0, v25, v20
	v_add_f16_e32 v8, v10, v33
	v_mul_f16_e32 v3, 0xbaee, v3
	v_add_f16_e32 v2, v30, v2
	v_fmac_f16_e32 v27, 0x3aee, v24
	v_add_f16_e32 v0, v26, v0
	v_add_f16_e32 v8, v34, v8
	v_fmac_f16_e32 v3, -0.5, v24
	v_sub_f16_e32 v35, v19, v1
	v_sub_f16_e32 v10, v9, v2
	;; [unrolled: 1-line block ×3, first 2 shown]
	v_add_f16_e32 v1, v19, v1
	v_add_f16_e32 v2, v9, v2
	v_and_b32_e32 v9, 0xffff, v45
	v_add_f16_e32 v19, v0, v8
	v_add_f16_e32 v11, v11, v21
	v_sub_f16_e32 v20, v22, v3
	v_add_f16_e32 v24, v28, v27
	v_add_f16_e32 v3, v22, v3
	v_sub_f16_e32 v0, v0, v8
	v_sub_f16_e32 v29, v28, v27
	v_lshlrev_b32_e32 v8, 2, v9
	v_pack_b32_f16 v2, v19, v2
	v_pack_b32_f16 v1, v11, v1
	;; [unrolled: 1-line block ×6, first 2 shown]
	ds_store_2addr_b32 v8, v2, v1 offset1:26
	ds_store_2addr_b32 v8, v3, v0 offset0:52 offset1:78
	ds_store_2addr_b32 v8, v9, v10 offset0:104 offset1:130
.LBB0_29:
	s_wait_alu 0xfffe
	s_or_b32 exec_lo, exec_lo, s0
	v_add_nc_u32_e32 v0, 0x400, v31
	global_wb scope:SCOPE_SE
	s_wait_dscnt 0x0
	s_barrier_signal -1
	s_barrier_wait -1
	global_inv scope:SCOPE_SE
	ds_load_2addr_b32 v[1:2], v31 offset1:156
	ds_load_2addr_b32 v[8:9], v0 offset0:56 offset1:212
	v_add_nc_u32_e32 v3, 0xc00, v31
	v_add_nc_u32_e32 v19, 0x1000, v31
	;; [unrolled: 1-line block ×3, first 2 shown]
	ds_load_b32 v23, v31 offset:2496
	ds_load_2addr_b32 v[10:11], v3 offset0:12 offset1:168
	ds_load_2addr_b32 v[19:20], v19 offset0:68 offset1:224
	;; [unrolled: 1-line block ×3, first 2 shown]
	s_wait_dscnt 0x5
	v_lshrrev_b32_e32 v24, 16, v2
	s_wait_dscnt 0x4
	v_lshrrev_b32_e32 v27, 16, v8
	v_lshrrev_b32_e32 v28, 16, v9
	v_mul_f16_e32 v26, v78, v2
	v_lshrrev_b32_e32 v3, 16, v1
	s_wait_dscnt 0x3
	v_lshrrev_b32_e32 v25, 16, v23
	s_wait_dscnt 0x2
	v_lshrrev_b32_e32 v29, 16, v10
	v_mul_f16_e32 v37, v78, v24
	v_mul_f16_e32 v39, v77, v27
	;; [unrolled: 1-line block ×3, first 2 shown]
	v_lshrrev_b32_e32 v30, 16, v11
	v_fma_f16 v24, v12, v24, -v26
	v_mul_f16_e32 v26, v77, v8
	v_mul_f16_e32 v38, v76, v9
	;; [unrolled: 1-line block ×3, first 2 shown]
	v_fmac_f16_e32 v37, v12, v2
	v_fmac_f16_e32 v39, v13, v8
	v_mul_f16_e32 v8, v75, v23
	v_fmac_f16_e32 v41, v14, v9
	v_mul_f16_e32 v9, v74, v29
	v_fma_f16 v2, v13, v27, -v26
	v_fma_f16 v12, v14, v28, -v38
	v_fmac_f16_e32 v40, v15, v23
	v_fma_f16 v8, v15, v25, -v8
	v_mul_f16_e32 v13, v74, v10
	v_fmac_f16_e32 v9, v4, v10
	v_mul_f16_e32 v10, v73, v30
	v_add_f16_e32 v14, v1, v37
	v_add_f16_e32 v15, v3, v24
	s_wait_dscnt 0x1
	v_lshrrev_b32_e32 v33, 16, v19
	v_fma_f16 v4, v4, v29, -v13
	v_mul_f16_e32 v13, v73, v11
	v_fmac_f16_e32 v10, v5, v11
	v_add_f16_e32 v11, v14, v39
	v_add_f16_e32 v14, v15, v2
	v_lshrrev_b32_e32 v34, 16, v20
	v_mul_f16_e32 v15, v72, v33
	v_fma_f16 v5, v5, v30, -v13
	v_mul_f16_e32 v13, v72, v19
	v_add_f16_e32 v14, v14, v12
	v_add_f16_e32 v11, v11, v41
	v_fmac_f16_e32 v15, v6, v19
	v_mul_f16_e32 v19, v71, v34
	v_fma_f16 v6, v6, v33, -v13
	v_add_f16_e32 v13, v14, v8
	v_mul_f16_e32 v14, v71, v20
	s_wait_dscnt 0x0
	v_lshrrev_b32_e32 v35, 16, v21
	v_lshrrev_b32_e32 v36, 16, v22
	v_add_f16_e32 v11, v11, v40
	v_fmac_f16_e32 v19, v7, v20
	v_add_f16_e32 v13, v13, v4
	v_fma_f16 v7, v7, v34, -v14
	v_mul_f16_e32 v14, v69, v22
	v_mul_f16_e32 v20, v68, v35
	v_add_f16_e32 v11, v11, v9
	v_add_f16_e32 v13, v13, v5
	v_mul_f16_e32 v23, v69, v36
	v_fma_f16 v14, v18, v36, -v14
	v_fmac_f16_e32 v20, v17, v21
	v_add_f16_e32 v11, v11, v10
	v_mul_f16_e32 v21, v68, v21
	v_add_f16_e32 v13, v13, v6
	v_fmac_f16_e32 v23, v18, v22
	v_sub_f16_e32 v18, v24, v14
	v_add_f16_e32 v11, v11, v15
	v_fma_f16 v17, v17, v35, -v21
	v_add_f16_e32 v13, v13, v7
	v_add_f16_e32 v21, v37, v23
	v_mul_f16_e32 v22, 0xb853, v18
	v_add_f16_e32 v11, v11, v19
	v_add_f16_e32 v24, v24, v14
	;; [unrolled: 1-line block ×3, first 2 shown]
	v_sub_f16_e32 v25, v37, v23
	v_fmamk_f16 v26, v21, 0x3abb, v22
	v_add_f16_e32 v11, v11, v20
	v_mul_f16_e32 v27, 0x3abb, v24
	v_add_f16_e32 v13, v13, v14
	v_mul_f16_e32 v28, 0x36a6, v24
	;; [unrolled: 2-line block ×3, first 2 shown]
	v_mul_f16_e32 v33, 0xbbeb, v18
	v_mul_f16_e32 v35, 0xb08e, v24
	;; [unrolled: 1-line block ×6, first 2 shown]
	v_sub_f16_e32 v46, v2, v17
	v_add_f16_e32 v2, v2, v17
	v_add_f16_e32 v11, v11, v23
	v_fmamk_f16 v23, v25, 0x3853, v27
	v_fma_f16 v22, v21, 0x3abb, -v22
	v_fmac_f16_e32 v27, 0xb853, v25
	v_fmamk_f16 v29, v21, 0x36a6, v26
	v_fmamk_f16 v30, v25, 0x3b47, v28
	v_fma_f16 v26, v21, 0x36a6, -v26
	v_fmac_f16_e32 v28, 0xbb47, v25
	v_fmamk_f16 v34, v21, 0xb08e, v33
	;; [unrolled: 4-line block ×4, first 2 shown]
	v_fmamk_f16 v45, v25, 0x3482, v24
	v_add_f16_e32 v47, v39, v20
	v_mul_f16_e32 v17, 0xbb47, v46
	v_fma_f16 v18, v21, 0xbbad, -v18
	v_fmac_f16_e32 v24, 0xb482, v25
	v_sub_f16_e32 v20, v39, v20
	v_mul_f16_e32 v21, 0x36a6, v2
	v_add_f16_e32 v23, v3, v23
	v_add_f16_e32 v22, v1, v22
	;; [unrolled: 1-line block ×17, first 2 shown]
	v_fmamk_f16 v25, v47, 0x36a6, v17
	v_add_f16_e32 v1, v1, v18
	v_add_f16_e32 v3, v3, v24
	v_mul_f16_e32 v18, 0xba0c, v46
	v_fmamk_f16 v24, v20, 0x3b47, v21
	v_add_f16_e32 v14, v25, v14
	v_fma_f16 v17, v47, 0x36a6, -v17
	v_fmac_f16_e32 v21, 0xbb47, v20
	v_fmamk_f16 v25, v47, 0xb93d, v18
	v_add_f16_e32 v23, v24, v23
	v_mul_f16_e32 v24, 0xb93d, v2
	v_add_f16_e32 v17, v17, v22
	v_add_f16_e32 v21, v21, v27
	;; [unrolled: 1-line block ×3, first 2 shown]
	v_mul_f16_e32 v25, 0x3482, v46
	v_fmamk_f16 v27, v20, 0x3a0c, v24
	v_fma_f16 v18, v47, 0xb93d, -v18
	v_mul_f16_e32 v29, 0xbbad, v2
	v_fmac_f16_e32 v24, 0xba0c, v20
	v_fmamk_f16 v39, v47, 0xbbad, v25
	v_add_f16_e32 v27, v27, v30
	v_add_f16_e32 v18, v18, v26
	v_fmamk_f16 v26, v20, 0xb482, v29
	v_mul_f16_e32 v30, 0x3beb, v46
	v_fma_f16 v25, v47, 0xbbad, -v25
	v_add_f16_e32 v24, v24, v28
	v_add_f16_e32 v28, v39, v34
	;; [unrolled: 1-line block ×3, first 2 shown]
	v_fmamk_f16 v37, v47, 0xb08e, v30
	v_add_f16_e32 v25, v25, v33
	v_mul_f16_e32 v33, 0x3853, v46
	v_fmac_f16_e32 v29, 0x3482, v20
	v_mul_f16_e32 v34, 0xb08e, v2
	v_add_f16_e32 v37, v37, v38
	v_fma_f16 v30, v47, 0xb08e, -v30
	v_fmamk_f16 v38, v47, 0x3abb, v33
	v_add_f16_e32 v29, v29, v35
	v_fmamk_f16 v35, v20, 0xbbeb, v34
	v_fmac_f16_e32 v34, 0x3beb, v20
	v_mul_f16_e32 v2, 0x3abb, v2
	v_add_f16_e32 v30, v30, v36
	v_add_f16_e32 v36, v38, v44
	v_sub_f16_e32 v38, v12, v7
	v_add_f16_e32 v7, v12, v7
	v_add_f16_e32 v34, v34, v42
	v_fmamk_f16 v39, v20, 0xb853, v2
	v_fma_f16 v33, v47, 0x3abb, -v33
	v_add_f16_e32 v12, v41, v19
	v_mul_f16_e32 v42, 0xbbeb, v38
	v_fmac_f16_e32 v2, 0x3853, v20
	v_sub_f16_e32 v19, v41, v19
	v_mul_f16_e32 v20, 0xb08e, v7
	v_add_f16_e32 v1, v33, v1
	v_fmamk_f16 v41, v12, 0xb08e, v42
	v_add_f16_e32 v2, v2, v3
	v_mul_f16_e32 v33, 0x3482, v38
	v_fmamk_f16 v3, v19, 0x3beb, v20
	v_fmac_f16_e32 v20, 0xbbeb, v19
	v_add_f16_e32 v14, v41, v14
	v_fma_f16 v41, v12, 0xb08e, -v42
	v_mul_f16_e32 v42, 0xbbad, v7
	v_add_f16_e32 v3, v3, v23
	v_fmamk_f16 v23, v12, 0xbbad, v33
	v_add_f16_e32 v20, v20, v21
	v_mul_f16_e32 v21, 0x3b47, v38
	v_add_f16_e32 v35, v35, v43
	v_add_f16_e32 v17, v41, v17
	;; [unrolled: 1-line block ×3, first 2 shown]
	v_fmamk_f16 v23, v19, 0xb482, v42
	v_fma_f16 v33, v12, 0xbbad, -v33
	v_fmamk_f16 v41, v12, 0x36a6, v21
	v_mul_f16_e32 v43, 0x36a6, v7
	v_fma_f16 v21, v12, 0x36a6, -v21
	v_add_f16_e32 v23, v23, v27
	v_add_f16_e32 v18, v33, v18
	;; [unrolled: 1-line block ×3, first 2 shown]
	v_fmamk_f16 v28, v19, 0xbb47, v43
	v_mul_f16_e32 v33, 0xb853, v38
	v_fmac_f16_e32 v43, 0x3b47, v19
	v_mul_f16_e32 v41, 0x3abb, v7
	v_add_f16_e32 v21, v21, v25
	v_add_f16_e32 v26, v28, v26
	v_fmamk_f16 v28, v12, 0x3abb, v33
	v_add_f16_e32 v25, v43, v29
	v_fmamk_f16 v29, v19, 0x3853, v41
	v_mul_f16_e32 v38, 0xba0c, v38
	v_fma_f16 v33, v12, 0x3abb, -v33
	v_fmac_f16_e32 v41, 0xb853, v19
	v_mul_f16_e32 v7, 0xb93d, v7
	v_add_f16_e32 v29, v29, v35
	v_fmamk_f16 v35, v12, 0xb93d, v38
	v_add_f16_e32 v30, v33, v30
	v_add_f16_e32 v33, v41, v34
	v_sub_f16_e32 v34, v8, v6
	v_add_f16_e32 v6, v8, v6
	v_fmac_f16_e32 v42, 0x3482, v19
	v_add_f16_e32 v28, v28, v37
	v_add_f16_e32 v35, v35, v36
	v_fmamk_f16 v36, v19, 0x3a0c, v7
	v_add_f16_e32 v37, v40, v15
	v_mul_f16_e32 v8, 0xba0c, v34
	v_fmac_f16_e32 v7, 0xba0c, v19
	v_sub_f16_e32 v15, v40, v15
	v_mul_f16_e32 v19, 0xb93d, v6
	v_fma_f16 v12, v12, 0xb93d, -v38
	v_fmamk_f16 v38, v37, 0xb93d, v8
	v_add_f16_e32 v2, v7, v2
	v_fma_f16 v8, v37, 0xb93d, -v8
	v_fmamk_f16 v7, v15, 0x3a0c, v19
	v_add_f16_e32 v1, v12, v1
	v_add_f16_e32 v12, v38, v14
	v_mul_f16_e32 v14, 0x3beb, v34
	v_fmac_f16_e32 v19, 0xba0c, v15
	v_add_f16_e32 v3, v7, v3
	v_mul_f16_e32 v7, 0xb08e, v6
	v_add_f16_e32 v8, v8, v17
	v_fmamk_f16 v38, v37, 0xb08e, v14
	v_add_f16_e32 v17, v19, v20
	v_mul_f16_e32 v19, 0xb853, v34
	v_fmamk_f16 v20, v15, 0xbbeb, v7
	v_add_f16_e32 v24, v42, v24
	v_add_f16_e32 v22, v38, v22
	v_fma_f16 v14, v37, 0xb08e, -v14
	v_fmac_f16_e32 v7, 0x3beb, v15
	v_fmamk_f16 v38, v37, 0x3abb, v19
	v_add_f16_e32 v20, v20, v23
	v_mul_f16_e32 v23, 0x3abb, v6
	v_add_f16_e32 v39, v39, v45
	v_add_f16_e32 v14, v14, v18
	;; [unrolled: 1-line block ×4, first 2 shown]
	v_mul_f16_e32 v24, 0xb482, v34
	v_fmamk_f16 v27, v15, 0x3853, v23
	v_add_f16_e32 v36, v36, v39
	v_fma_f16 v19, v37, 0x3abb, -v19
	v_fmac_f16_e32 v23, 0xb853, v15
	v_fmamk_f16 v39, v37, 0xbbad, v24
	v_add_f16_e32 v26, v27, v26
	v_mul_f16_e32 v27, 0x3b47, v34
	v_fma_f16 v24, v37, 0xbbad, -v24
	v_mul_f16_e32 v38, 0xbbad, v6
	v_add_f16_e32 v19, v19, v21
	v_add_f16_e32 v21, v23, v25
	;; [unrolled: 1-line block ×3, first 2 shown]
	v_fmamk_f16 v28, v37, 0x36a6, v27
	v_add_f16_e32 v24, v24, v30
	v_sub_f16_e32 v30, v4, v5
	v_fmamk_f16 v23, v15, 0x3482, v38
	v_mul_f16_e32 v6, 0x36a6, v6
	v_add_f16_e32 v28, v28, v35
	v_add_f16_e32 v34, v9, v10
	v_mul_f16_e32 v35, 0xb482, v30
	v_add_f16_e32 v4, v4, v5
	v_fma_f16 v5, v37, 0x36a6, -v27
	v_add_f16_e32 v23, v23, v29
	v_fmac_f16_e32 v38, 0xb482, v15
	v_fmamk_f16 v29, v15, 0xbb47, v6
	v_fmac_f16_e32 v6, 0x3b47, v15
	v_sub_f16_e32 v9, v9, v10
	v_fmamk_f16 v10, v34, 0xbbad, v35
	v_mul_f16_e32 v15, 0xbbad, v4
	v_add_f16_e32 v1, v5, v1
	v_mul_f16_e32 v5, 0x3853, v30
	v_add_f16_e32 v2, v6, v2
	v_add_f16_e32 v6, v10, v12
	v_fmamk_f16 v10, v9, 0x3482, v15
	v_fma_f16 v12, v34, 0xbbad, -v35
	v_fmac_f16_e32 v15, 0xb482, v9
	v_fmamk_f16 v27, v34, 0x3abb, v5
	v_mul_f16_e32 v35, 0x3abb, v4
	v_add_f16_e32 v3, v10, v3
	v_add_f16_e32 v8, v12, v8
	;; [unrolled: 1-line block ×4, first 2 shown]
	v_fmamk_f16 v15, v9, 0xb853, v35
	v_mul_f16_e32 v17, 0xba0c, v30
	v_fma_f16 v5, v34, 0x3abb, -v5
	v_mul_f16_e32 v22, 0xb93d, v4
	v_mul_f16_e32 v27, 0x3b47, v30
	v_add_f16_e32 v15, v15, v20
	v_fmamk_f16 v20, v34, 0xb93d, v17
	v_add_f16_e32 v14, v5, v14
	v_fmamk_f16 v5, v9, 0x3a0c, v22
	v_fma_f16 v17, v34, 0xb93d, -v17
	v_fmac_f16_e32 v22, 0xba0c, v9
	v_add_f16_e32 v18, v20, v18
	v_fmamk_f16 v20, v34, 0x36a6, v27
	v_add_f16_e32 v5, v5, v26
	v_mul_f16_e32 v26, 0x36a6, v4
	v_add_f16_e32 v33, v38, v33
	v_add_f16_e32 v17, v17, v19
	;; [unrolled: 1-line block ×3, first 2 shown]
	v_mul_f16_e32 v21, 0xbbeb, v30
	v_add_f16_e32 v20, v20, v25
	v_fmamk_f16 v22, v9, 0xbb47, v26
	v_fma_f16 v25, v34, 0x36a6, -v27
	v_fmac_f16_e32 v26, 0x3b47, v9
	v_mul_f16_e32 v4, 0xb08e, v4
	v_add_f16_e32 v29, v29, v36
	v_fmamk_f16 v27, v34, 0xb08e, v21
	v_add_f16_e32 v22, v22, v23
	v_add_f16_e32 v23, v25, v24
	;; [unrolled: 1-line block ×3, first 2 shown]
	v_fmamk_f16 v26, v9, 0x3beb, v4
	v_fma_f16 v21, v34, 0xb08e, -v21
	v_fmac_f16_e32 v4, 0xbbeb, v9
	v_fmac_f16_e32 v35, 0x3853, v9
	v_pack_b32_f16 v9, v11, v13
	v_pack_b32_f16 v3, v6, v3
	v_add_f16_e32 v25, v27, v28
	v_pack_b32_f16 v6, v12, v15
	v_pack_b32_f16 v5, v18, v5
	v_add_f16_e32 v11, v26, v29
	v_add_f16_e32 v1, v21, v1
	;; [unrolled: 1-line block ×4, first 2 shown]
	ds_store_2addr_b32 v31, v9, v3 offset1:156
	ds_store_2addr_b32 v0, v6, v5 offset0:56 offset1:212
	v_pack_b32_f16 v0, v20, v22
	v_add_nc_u32_e32 v5, 0xe00, v31
	v_add_nc_u32_e32 v4, 0x1200, v31
	v_pack_b32_f16 v3, v25, v11
	v_pack_b32_f16 v1, v1, v2
	;; [unrolled: 1-line block ×6, first 2 shown]
	ds_store_b32 v31, v0 offset:2496
	ds_store_b32 v31, v3 offset:3120
	ds_store_2addr_b32 v5, v1, v2 offset0:40 offset1:196
	ds_store_2addr_b32 v4, v6, v7 offset0:96 offset1:252
	ds_store_b32 v31, v8 offset:6240
	global_wb scope:SCOPE_SE
	s_wait_dscnt 0x0
	s_barrier_signal -1
	s_barrier_wait -1
	global_inv scope:SCOPE_SE
	s_and_b32 exec_lo, exec_lo, vcc_lo
	s_cbranch_execz .LBB0_31
; %bb.30:
	s_clause 0x6
	global_load_b32 v0, v31, s[20:21]
	global_load_b32 v1, v31, s[20:21] offset:528
	global_load_b32 v2, v31, s[20:21] offset:1056
	global_load_b32 v3, v31, s[20:21] offset:1584
	global_load_b32 v10, v31, s[20:21] offset:2112
	global_load_b32 v27, v31, s[20:21] offset:2640
	global_load_b32 v42, v31, s[20:21] offset:3168
	ds_load_b32 v23, v31
	v_mad_co_u64_u32 v[11:12], null, s6, v16, 0
	v_mad_co_u64_u32 v[13:14], null, s4, v32, 0
	v_add_nc_u32_e32 v6, 0x200, v31
	v_add_nc_u32_e32 v7, 0x600, v31
	;; [unrolled: 1-line block ×3, first 2 shown]
	ds_load_2addr_b32 v[17:18], v6 offset0:4 offset1:136
	ds_load_2addr_b32 v[19:20], v7 offset0:12 offset1:144
	;; [unrolled: 1-line block ×3, first 2 shown]
	v_dual_mov_b32 v6, v12 :: v_dual_mov_b32 v7, v14
	s_mov_b32 s24, 0x58e9ebb6
	s_mov_b32 s25, 0x3f431877
	s_mul_u64 s[22:23], s[4:5], 0x210
	s_delay_alu instid0(VALU_DEP_1)
	v_mad_co_u64_u32 v[14:15], null, s7, v16, v[6:7]
	v_mad_co_u64_u32 v[15:16], null, s5, v32, v[7:8]
	s_wait_dscnt 0x3
	v_lshrrev_b32_e32 v16, 16, v23
	s_clause 0x3
	global_load_b32 v9, v31, s[20:21] offset:3696
	global_load_b32 v7, v31, s[20:21] offset:4224
	;; [unrolled: 1-line block ×4, first 2 shown]
	v_mov_b32_e32 v12, v14
	v_mov_b32_e32 v14, v15
	s_wait_dscnt 0x2
	v_lshrrev_b32_e32 v15, 16, v17
	v_lshrrev_b32_e32 v24, 16, v18
	s_wait_dscnt 0x1
	v_lshrrev_b32_e32 v28, 16, v19
	v_lshrrev_b32_e32 v29, 16, v20
	s_wait_dscnt 0x0
	v_lshrrev_b32_e32 v30, 16, v21
	v_lshrrev_b32_e32 v43, 16, v22
	s_wait_loadcnt 0xa
	v_lshrrev_b32_e32 v25, 16, v0
	s_wait_loadcnt 0x9
	v_lshrrev_b32_e32 v26, 16, v1
	;; [unrolled: 2-line block ×5, first 2 shown]
	v_mul_f16_e32 v36, v16, v25
	v_mul_f16_e32 v25, v23, v25
	;; [unrolled: 1-line block ×5, first 2 shown]
	v_fmac_f16_e32 v36, v23, v0
	v_fma_f16 v0, v0, v16, -v25
	v_fmac_f16_e32 v37, v17, v1
	v_fma_f16 v25, v1, v15, -v26
	v_mul_f16_e32 v23, v18, v32
	v_cvt_f32_f16_e32 v16, v36
	v_cvt_f32_f16_e32 v17, v0
	;; [unrolled: 1-line block ×3, first 2 shown]
	v_fmac_f16_e32 v38, v18, v2
	v_cvt_f32_f16_e32 v25, v25
	v_cvt_f64_f32_e32 v[0:1], v16
	v_cvt_f64_f32_e32 v[15:16], v17
	;; [unrolled: 1-line block ×3, first 2 shown]
	v_mul_f16_e32 v32, v28, v33
	v_cvt_f32_f16_e32 v26, v38
	v_fma_f16 v2, v2, v24, -v23
	v_cvt_f64_f32_e32 v[23:24], v25
	v_mul_f16_e32 v33, v19, v33
	v_fmac_f16_e32 v32, v19, v3
	v_cvt_f64_f32_e32 v[25:26], v26
	v_cvt_f32_f16_e32 v2, v2
	s_wait_loadcnt 0x5
	v_lshrrev_b32_e32 v35, 16, v27
	v_mul_f16_e32 v36, v29, v34
	v_cvt_f32_f16_e32 v19, v32
	v_fma_f16 v28, v3, v28, -v33
	v_cvt_f64_f32_e32 v[2:3], v2
	v_mul_f16_e32 v34, v20, v34
	v_mul_f16_e32 v37, v30, v35
	;; [unrolled: 1-line block ×3, first 2 shown]
	v_fmac_f16_e32 v36, v20, v10
	v_cvt_f64_f32_e32 v[19:20], v19
	v_cvt_f32_f16_e32 v28, v28
	v_fma_f16 v10, v10, v29, -v34
	v_fmac_f16_e32 v37, v21, v27
	v_fma_f16 v21, v27, v30, -v35
	v_cvt_f32_f16_e32 v29, v36
	v_cvt_f64_f32_e32 v[27:28], v28
	v_cvt_f32_f16_e32 v32, v10
	v_lshlrev_b64_e32 v[10:11], 2, v[11:12]
	s_wait_loadcnt 0x4
	v_lshrrev_b32_e32 v44, 16, v42
	v_cvt_f64_f32_e32 v[29:30], v29
	v_cvt_f32_f16_e32 v21, v21
	v_cvt_f64_f32_e32 v[32:33], v32
	v_cvt_f32_f16_e32 v34, v37
	v_mul_f16_e32 v38, v43, v44
	s_delay_alu instid0(VALU_DEP_4) | instskip(NEXT) | instid1(VALU_DEP_3)
	v_cvt_f64_f32_e32 v[36:37], v21
	v_cvt_f64_f32_e32 v[34:35], v34
	v_mul_f64_e32 v[40:41], s[24:25], v[0:1]
	v_lshlrev_b64_e32 v[0:1], 2, v[13:14]
	v_mul_f64_e32 v[12:13], s[24:25], v[15:16]
	v_add_co_u32 v14, vcc_lo, s8, v10
	v_add_co_ci_u32_e32 v15, vcc_lo, s9, v11, vcc_lo
	v_mul_f64_e32 v[10:11], s[24:25], v[17:18]
	v_mul_f64_e32 v[16:17], s[24:25], v[23:24]
	v_fmac_f16_e32 v38, v22, v42
	v_add_co_u32 v14, vcc_lo, v14, v0
	v_mul_f16_e32 v0, v22, v44
	v_mul_f64_e32 v[21:22], s[24:25], v[25:26]
	v_mul_f64_e32 v[25:26], s[24:25], v[2:3]
	s_wait_alu 0xfffd
	v_add_co_ci_u32_e32 v15, vcc_lo, v15, v1, vcc_lo
	v_add_co_u32 v23, vcc_lo, v14, s22
	v_mul_f64_e32 v[18:19], s[24:25], v[19:20]
	s_wait_alu 0xfffd
	s_delay_alu instid0(VALU_DEP_3)
	v_add_co_ci_u32_e32 v24, vcc_lo, s23, v15, vcc_lo
	v_fma_f16 v0, v42, v43, -v0
	v_add_co_u32 v42, vcc_lo, v23, s22
	v_mul_f64_e32 v[27:28], s[24:25], v[27:28]
	s_wait_alu 0xfffd
	v_add_co_ci_u32_e32 v43, vcc_lo, s23, v24, vcc_lo
	s_delay_alu instid0(VALU_DEP_3) | instskip(SKIP_2) | instid1(VALU_DEP_3)
	v_add_co_u32 v44, vcc_lo, v42, s22
	v_mul_f64_e32 v[29:30], s[24:25], v[29:30]
	s_wait_alu 0xfffd
	v_add_co_ci_u32_e32 v45, vcc_lo, s23, v43, vcc_lo
	v_mul_f64_e32 v[32:33], s[24:25], v[32:33]
	v_cvt_f32_f16_e32 v38, v38
	v_cvt_f32_f16_e32 v0, v0
	v_mul_f64_e32 v[2:3], s[24:25], v[36:37]
	v_mul_f64_e32 v[34:35], s[24:25], v[34:35]
	v_and_or_b32 v20, 0x1ff, v41, v40
	v_cvt_f64_f32_e32 v[38:39], v38
	v_and_or_b32 v12, 0x1ff, v13, v12
	v_lshrrev_b32_e32 v36, 8, v41
	v_cvt_f64_f32_e32 v[46:47], v0
	v_cmp_ne_u32_e32 vcc_lo, 0, v20
	v_bfe_u32 v37, v41, 20, 11
	v_and_or_b32 v10, 0x1ff, v11, v10
	v_and_or_b32 v16, 0x1ff, v17, v16
	v_bfe_u32 v40, v13, 20, 11
	s_wait_alu 0xfffd
	v_cndmask_b32_e64 v20, 0, 1, vcc_lo
	v_cmp_ne_u32_e32 vcc_lo, 0, v12
	v_bfe_u32 v48, v11, 20, 11
	v_and_or_b32 v21, 0x1ff, v22, v21
	v_and_or_b32 v25, 0x1ff, v26, v25
	v_lshrrev_b32_e32 v53, 8, v26
	s_wait_alu 0xfffd
	v_cndmask_b32_e64 v12, 0, 1, vcc_lo
	v_cmp_ne_u32_e32 vcc_lo, 0, v10
	v_bfe_u32 v54, v26, 20, 11
	v_and_or_b32 v18, 0x1ff, v19, v18
	v_lshrrev_b32_e32 v55, 8, v19
	v_bfe_u32 v56, v19, 20, 11
	s_wait_alu 0xfffd
	v_cndmask_b32_e64 v10, 0, 1, vcc_lo
	v_cmp_ne_u32_e32 vcc_lo, 0, v16
	v_lshrrev_b32_e32 v51, 8, v22
	v_and_or_b32 v27, 0x1ff, v28, v27
	v_lshrrev_b32_e32 v57, 8, v28
	v_bfe_u32 v58, v28, 20, 11
	s_wait_alu 0xfffd
	v_cndmask_b32_e64 v16, 0, 1, vcc_lo
	v_cmp_ne_u32_e32 vcc_lo, 0, v21
	v_and_or_b32 v29, 0x1ff, v30, v29
	v_lshrrev_b32_e32 v59, 8, v30
	v_bfe_u32 v60, v30, 20, 11
	v_and_or_b32 v32, 0x1ff, v33, v32
	s_wait_alu 0xfffd
	v_cndmask_b32_e64 v21, 0, 1, vcc_lo
	v_cmp_ne_u32_e32 vcc_lo, 0, v25
	v_lshrrev_b32_e32 v61, 8, v33
	v_bfe_u32 v62, v33, 20, 11
	v_sub_nc_u32_e32 v73, 0x3f1, v60
	v_sub_nc_u32_e32 v72, 0x3f1, v58
	s_wait_alu 0xfffd
	v_cndmask_b32_e64 v25, 0, 1, vcc_lo
	v_cmp_ne_u32_e32 vcc_lo, 0, v18
	v_sub_nc_u32_e32 v74, 0x3f1, v62
	v_add_nc_u32_e32 v62, 0xfffffc10, v62
	v_and_or_b32 v34, 0x1ff, v35, v34
	v_sub_nc_u32_e32 v71, 0x3f1, v56
	s_wait_alu 0xfffd
	v_cndmask_b32_e64 v18, 0, 1, vcc_lo
	v_cmp_ne_u32_e32 vcc_lo, 0, v27
	v_mul_f64_e32 v[0:1], s[24:25], v[38:39]
	v_lshrrev_b32_e32 v39, 8, v13
	v_bfe_u32 v52, v22, 20, 11
	v_and_or_b32 v18, 0xffe, v55, v18
	s_wait_alu 0xfffd
	v_cndmask_b32_e64 v27, 0, 1, vcc_lo
	v_cmp_ne_u32_e32 vcc_lo, 0, v29
	v_sub_nc_u32_e32 v70, 0x3f1, v54
	v_and_or_b32 v20, 0xffe, v36, v20
	v_and_or_b32 v25, 0xffe, v53, v25
	;; [unrolled: 1-line block ×3, first 2 shown]
	s_wait_alu 0xfffd
	v_cndmask_b32_e64 v29, 0, 1, vcc_lo
	v_cmp_ne_u32_e32 vcc_lo, 0, v32
	v_lshrrev_b32_e32 v38, 16, v41
	v_lshrrev_b32_e32 v41, 8, v11
	;; [unrolled: 1-line block ×3, first 2 shown]
	v_and_or_b32 v29, 0xffe, v59, v29
	s_wait_alu 0xfffd
	v_cndmask_b32_e64 v32, 0, 1, vcc_lo
	v_cmp_ne_u32_e32 vcc_lo, 0, v34
	v_bfe_u32 v50, v17, 20, 11
	v_sub_nc_u32_e32 v65, 0x3f1, v37
	v_add_nc_u32_e32 v37, 0xfffffc10, v37
	v_and_or_b32 v32, 0xffe, v61, v32
	v_sub_nc_u32_e32 v66, 0x3f1, v40
	v_sub_nc_u32_e32 v69, 0x3f1, v52
	s_wait_alu 0xfffd
	v_cndmask_b32_e64 v34, 0, 1, vcc_lo
	v_and_or_b32 v12, 0xffe, v39, v12
	v_lshl_or_b32 v84, v62, 12, v32
	v_add_nc_u32_e32 v60, 0xfffffc10, v60
	v_and_or_b32 v21, 0xffe, v51, v21
	v_cmp_ne_u32_e32 vcc_lo, 0, v20
	v_add_nc_u32_e32 v40, 0xfffffc10, v40
	v_sub_nc_u32_e32 v67, 0x3f1, v48
	v_lshl_or_b32 v82, v60, 12, v29
	v_add_nc_u32_e32 v58, 0xfffffc10, v58
	v_sub_nc_u32_e32 v68, 0x3f1, v50
	v_med3_i32 v36, v65, 0, 13
	v_med3_i32 v39, v66, 0, 13
	v_and_or_b32 v10, 0xffe, v41, v10
	v_lshl_or_b32 v80, v58, 12, v27
	v_add_nc_u32_e32 v56, 0xfffffc10, v56
	v_and_or_b32 v16, 0xffe, v49, v16
	v_med3_i32 v61, v74, 0, 13
	v_or_b32_e32 v65, 0x1000, v20
	v_lshl_or_b32 v66, v37, 12, v20
	v_lshl_or_b32 v78, v56, 12, v18
	v_add_nc_u32_e32 v54, 0xfffffc10, v54
	s_wait_alu 0xfffd
	v_cndmask_b32_e64 v20, 0, 1, vcc_lo
	v_cmp_ne_u32_e32 vcc_lo, 0, v12
	v_med3_i32 v41, v67, 0, 13
	v_med3_i32 v49, v68, 0, 13
	v_lshl_or_b32 v76, v54, 12, v25
	v_add_nc_u32_e32 v52, 0xfffffc10, v52
	v_med3_i32 v57, v72, 0, 13
	v_or_b32_e32 v67, 0x1000, v12
	v_lshl_or_b32 v68, v40, 12, v12
	s_wait_alu 0xfffd
	v_cndmask_b32_e64 v12, 0, 1, vcc_lo
	v_lshl_or_b32 v74, v52, 12, v21
	v_add_nc_u32_e32 v50, 0xfffffc10, v50
	v_cmp_ne_u32_e32 vcc_lo, 0, v10
	v_med3_i32 v51, v69, 0, 13
	v_med3_i32 v53, v70, 0, 13
	v_or_b32_e32 v69, 0x1000, v10
	v_lshl_or_b32 v72, v50, 12, v16
	v_add_nc_u32_e32 v48, 0xfffffc10, v48
	v_bfe_u32 v64, v35, 20, 11
	v_med3_i32 v55, v71, 0, 13
	v_or_b32_e32 v71, 0x1000, v16
	v_lshrrev_b32_e32 v63, 8, v35
	v_lshl_or_b32 v70, v48, 12, v10
	s_wait_alu 0xfffd
	v_cndmask_b32_e64 v10, 0, 1, vcc_lo
	v_cmp_ne_u32_e32 vcc_lo, 0, v16
	v_sub_nc_u32_e32 v75, 0x3f1, v64
	v_med3_i32 v59, v73, 0, 13
	v_or_b32_e32 v73, 0x1000, v21
	v_and_or_b32 v34, 0xffe, v63, v34
	s_wait_alu 0xfffd
	v_cndmask_b32_e64 v16, 0, 1, vcc_lo
	v_cmp_ne_u32_e32 vcc_lo, 0, v21
	v_med3_i32 v63, v75, 0, 13
	v_or_b32_e32 v75, 0x1000, v25
	v_or_b32_e32 v77, 0x1000, v18
	;; [unrolled: 1-line block ×3, first 2 shown]
	s_wait_alu 0xfffd
	v_cndmask_b32_e64 v21, 0, 1, vcc_lo
	v_cmp_ne_u32_e32 vcc_lo, 0, v25
	v_lshrrev_b32_e32 v86, v36, v65
	v_or_b32_e32 v81, 0x1000, v29
	v_or_b32_e32 v83, 0x1000, v32
	v_lshrrev_b32_e32 v87, v39, v67
	s_wait_alu 0xfffd
	v_cndmask_b32_e64 v25, 0, 1, vcc_lo
	v_cmp_ne_u32_e32 vcc_lo, 0, v18
	v_lshlrev_b32_e32 v36, v36, v86
	v_lshrrev_b32_e32 v88, v41, v69
	v_lshrrev_b32_e32 v89, v49, v71
	;; [unrolled: 1-line block ×3, first 2 shown]
	s_wait_alu 0xfffd
	v_cndmask_b32_e64 v18, 0, 1, vcc_lo
	v_cmp_ne_u32_e32 vcc_lo, 0, v27
	v_lshlrev_b32_e32 v41, v41, v88
	v_lshlrev_b32_e32 v49, v49, v89
	v_lshl_or_b32 v20, v20, 9, 0x7c00
	v_lshrrev_b32_e32 v91, v53, v75
	s_wait_alu 0xfffd
	v_cndmask_b32_e64 v27, 0, 1, vcc_lo
	v_cmp_ne_u32_e32 vcc_lo, 0, v29
	v_lshlrev_b32_e32 v51, v51, v90
	v_lshl_or_b32 v12, v12, 9, 0x7c00
	v_lshrrev_b32_e32 v92, v55, v77
	v_lshlrev_b32_e32 v53, v53, v91
	s_wait_alu 0xfffd
	v_cndmask_b32_e64 v29, 0, 1, vcc_lo
	v_cmp_ne_u32_e32 vcc_lo, 0, v32
	v_lshl_or_b32 v10, v10, 9, 0x7c00
	v_lshrrev_b32_e32 v93, v57, v79
	v_lshlrev_b32_e32 v55, v55, v92
	v_lshl_or_b32 v18, v18, 9, 0x7c00
	s_wait_alu 0xfffd
	v_cndmask_b32_e64 v32, 0, 1, vcc_lo
	v_cmp_ne_u32_e32 vcc_lo, v36, v65
	v_lshrrev_b32_e32 v94, v59, v81
	v_lshlrev_b32_e32 v57, v57, v93
	v_or_b32_e32 v85, 0x1000, v34
	v_lshl_or_b32 v16, v16, 9, 0x7c00
	s_wait_alu 0xfffd
	v_cndmask_b32_e64 v36, 0, 1, vcc_lo
	v_lshrrev_b32_e32 v95, v61, v83
	v_lshlrev_b32_e32 v59, v59, v94
	v_lshrrev_b32_e32 v96, v63, v85
	v_lshl_or_b32 v27, v27, 9, 0x7c00
	v_or_b32_e32 v36, v86, v36
	v_lshlrev_b32_e32 v39, v39, v87
	v_lshlrev_b32_e32 v61, v61, v95
	;; [unrolled: 1-line block ×3, first 2 shown]
	v_lshl_or_b32 v21, v21, 9, 0x7c00
	v_lshl_or_b32 v25, v25, 9, 0x7c00
	v_cmp_ne_u32_e32 vcc_lo, v39, v67
	v_lshrrev_b32_e32 v13, 16, v13
	v_lshrrev_b32_e32 v11, 16, v11
	;; [unrolled: 1-line block ×4, first 2 shown]
	s_wait_alu 0xfffd
	v_cndmask_b32_e64 v39, 0, 1, vcc_lo
	v_cmp_ne_u32_e32 vcc_lo, v41, v69
	v_lshrrev_b32_e32 v19, 16, v19
	v_lshl_or_b32 v29, v29, 9, 0x7c00
	v_lshrrev_b32_e32 v26, 16, v26
	v_or_b32_e32 v39, v87, v39
	s_wait_alu 0xfffd
	v_cndmask_b32_e64 v41, 0, 1, vcc_lo
	v_cmp_ne_u32_e32 vcc_lo, v49, v71
	v_and_or_b32 v2, 0x1ff, v3, v2
	v_lshl_or_b32 v32, v32, 9, 0x7c00
	v_lshrrev_b32_e32 v28, 16, v28
	v_or_b32_e32 v41, v88, v41
	s_wait_alu 0xfffd
	v_cndmask_b32_e64 v49, 0, 1, vcc_lo
	v_cmp_ne_u32_e32 vcc_lo, v51, v73
	v_lshrrev_b32_e32 v30, 16, v30
	v_lshrrev_b32_e32 v33, 16, v33
	v_and_or_b32 v0, 0x1ff, v1, v0
	v_or_b32_e32 v49, v89, v49
	s_wait_alu 0xfffd
	v_cndmask_b32_e64 v51, 0, 1, vcc_lo
	v_cmp_ne_u32_e32 vcc_lo, v53, v75
	s_delay_alu instid0(VALU_DEP_2) | instskip(SKIP_3) | instid1(VALU_DEP_2)
	v_or_b32_e32 v51, v90, v51
	s_wait_alu 0xfffd
	v_cndmask_b32_e64 v53, 0, 1, vcc_lo
	v_cmp_ne_u32_e32 vcc_lo, v55, v77
	v_or_b32_e32 v53, v91, v53
	s_wait_alu 0xfffd
	v_cndmask_b32_e64 v55, 0, 1, vcc_lo
	v_cmp_ne_u32_e32 vcc_lo, v57, v79
	s_delay_alu instid0(VALU_DEP_2) | instskip(SKIP_3) | instid1(VALU_DEP_2)
	v_or_b32_e32 v55, v92, v55
	s_wait_alu 0xfffd
	v_cndmask_b32_e64 v57, 0, 1, vcc_lo
	v_cmp_ne_u32_e32 vcc_lo, v59, v81
	;; [unrolled: 9-line block ×3, first 2 shown]
	v_or_b32_e32 v61, v95, v61
	s_wait_alu 0xfffd
	v_cndmask_b32_e64 v63, 0, 1, vcc_lo
	v_cmp_gt_i32_e32 vcc_lo, 1, v37
	s_wait_alu 0xfffd
	v_cndmask_b32_e32 v36, v66, v36, vcc_lo
	v_cmp_gt_i32_e32 vcc_lo, 1, v40
	s_delay_alu instid0(VALU_DEP_2)
	v_and_b32_e32 v65, 7, v36
	s_wait_alu 0xfffd
	v_cndmask_b32_e32 v39, v68, v39, vcc_lo
	v_cmp_gt_i32_e32 vcc_lo, 1, v48
	v_lshrrev_b32_e32 v36, 2, v36
	v_cmp_eq_u32_e64 s0, 3, v65
	s_wait_alu 0xfffd
	v_dual_cndmask_b32 v41, v70, v41 :: v_dual_and_b32 v66, 7, v39
	v_cmp_gt_i32_e32 vcc_lo, 1, v50
	v_lshrrev_b32_e32 v39, 2, v39
	s_delay_alu instid0(VALU_DEP_3) | instskip(NEXT) | instid1(VALU_DEP_4)
	v_cmp_lt_i32_e64 s1, 5, v66
	v_and_b32_e32 v67, 7, v41
	s_wait_alu 0xfffd
	v_cndmask_b32_e32 v49, v72, v49, vcc_lo
	v_cmp_gt_i32_e32 vcc_lo, 1, v52
	v_cmp_eq_u32_e64 s2, 3, v66
	v_lshrrev_b32_e32 v41, 2, v41
	v_cmp_lt_i32_e64 s3, 5, v67
	s_wait_alu 0xfffd
	v_dual_cndmask_b32 v51, v74, v51 :: v_dual_and_b32 v68, 7, v49
	v_cmp_gt_i32_e32 vcc_lo, 1, v54
	v_cmp_eq_u32_e64 s4, 3, v67
	v_lshrrev_b32_e32 v49, 2, v49
	s_delay_alu instid0(VALU_DEP_4)
	v_cmp_lt_i32_e64 s5, 5, v68
	v_and_b32_e32 v69, 7, v51
	s_wait_alu 0xfffd
	v_cndmask_b32_e32 v53, v76, v53, vcc_lo
	v_cmp_gt_i32_e32 vcc_lo, 1, v56
	v_cmp_eq_u32_e64 s6, 3, v68
	v_lshrrev_b32_e32 v51, 2, v51
	v_cmp_lt_i32_e64 s7, 5, v69
	s_wait_alu 0xfffd
	v_dual_cndmask_b32 v55, v78, v55 :: v_dual_and_b32 v70, 7, v53
	v_cmp_gt_i32_e32 vcc_lo, 1, v58
	v_cmp_eq_u32_e64 s8, 3, v69
	v_lshrrev_b32_e32 v53, 2, v53
	s_delay_alu instid0(VALU_DEP_4)
	;; [unrolled: 14-line block ×3, first 2 shown]
	v_cmp_lt_i32_e64 s13, 5, v72
	v_and_b32_e32 v73, 7, v59
	s_wait_alu 0xfffd
	v_cndmask_b32_e32 v61, v84, v61, vcc_lo
	v_cmp_lt_i32_e32 vcc_lo, 5, v65
	v_cmp_eq_u32_e64 s14, 3, v72
	v_lshrrev_b32_e32 v59, 2, v59
	v_cmp_lt_i32_e64 s15, 5, v73
	v_and_b32_e32 v74, 7, v61
	s_or_b32 vcc_lo, s0, vcc_lo
	v_cmp_eq_u32_e64 s16, 3, v73
	s_wait_alu 0xfffe
	v_add_co_ci_u32_e32 v36, vcc_lo, 0, v36, vcc_lo
	s_or_b32 vcc_lo, s2, s1
	v_cmp_lt_i32_e64 s17, 5, v74
	s_wait_alu 0xfffe
	v_add_co_ci_u32_e32 v39, vcc_lo, 0, v39, vcc_lo
	s_or_b32 vcc_lo, s4, s3
	v_cmp_eq_u32_e64 s18, 3, v74
	s_wait_alu 0xfffe
	v_add_co_ci_u32_e32 v41, vcc_lo, 0, v41, vcc_lo
	s_or_b32 vcc_lo, s6, s5
	v_lshrrev_b32_e32 v61, 2, v61
	s_wait_alu 0xfffe
	v_add_co_ci_u32_e32 v49, vcc_lo, 0, v49, vcc_lo
	s_or_b32 vcc_lo, s8, s7
	s_wait_alu 0xfffe
	v_add_co_ci_u32_e32 v51, vcc_lo, 0, v51, vcc_lo
	s_or_b32 vcc_lo, s10, s9
	;; [unrolled: 3-line block ×6, first 2 shown]
	s_wait_alu 0xfffe
	v_add_co_ci_u32_e32 v61, vcc_lo, 0, v61, vcc_lo
	v_cmp_gt_i32_e32 vcc_lo, 31, v37
	s_wait_alu 0xfffd
	v_cndmask_b32_e32 v36, 0x7c00, v36, vcc_lo
	v_cmp_gt_i32_e32 vcc_lo, 31, v40
	s_wait_alu 0xfffd
	v_cndmask_b32_e32 v39, 0x7c00, v39, vcc_lo
	;; [unrolled: 3-line block ×10, first 2 shown]
	v_cmp_eq_u32_e32 vcc_lo, 0x40f, v37
	s_wait_alu 0xfffd
	v_cndmask_b32_e32 v20, v36, v20, vcc_lo
	v_cmp_eq_u32_e32 vcc_lo, 0x40f, v40
	s_delay_alu instid0(VALU_DEP_2) | instskip(SKIP_3) | instid1(VALU_DEP_2)
	v_and_or_b32 v20, 0x8000, v38, v20
	s_wait_alu 0xfffd
	v_cndmask_b32_e32 v12, v39, v12, vcc_lo
	v_cmp_eq_u32_e32 vcc_lo, 0x40f, v48
	v_and_or_b32 v12, 0x8000, v13, v12
	s_wait_alu 0xfffd
	v_cndmask_b32_e32 v10, v41, v10, vcc_lo
	v_cmp_eq_u32_e32 vcc_lo, 0x40f, v50
	s_delay_alu instid0(VALU_DEP_2) | instskip(SKIP_3) | instid1(VALU_DEP_2)
	v_and_or_b32 v10, 0x8000, v11, v10
	s_wait_alu 0xfffd
	v_cndmask_b32_e32 v16, v49, v16, vcc_lo
	v_cmp_eq_u32_e32 vcc_lo, 0x40f, v52
	v_and_or_b32 v11, 0x8000, v17, v16
	s_wait_alu 0xfffd
	v_cndmask_b32_e32 v21, v51, v21, vcc_lo
	v_cmp_eq_u32_e32 vcc_lo, 0x40f, v54
	v_add_nc_u32_e32 v64, 0xfffffc10, v64
	s_delay_alu instid0(VALU_DEP_3)
	v_and_or_b32 v13, 0x8000, v22, v21
	s_wait_alu 0xfffd
	v_cndmask_b32_e32 v25, v53, v25, vcc_lo
	v_cmp_eq_u32_e32 vcc_lo, 0x40f, v56
	s_wait_loadcnt 0x3
	v_lshrrev_b32_e32 v21, 16, v9
	v_and_b32_e32 v13, 0xffff, v13
	v_and_or_b32 v16, 0x8000, v26, v25
	s_wait_alu 0xfffd
	v_cndmask_b32_e32 v18, v55, v18, vcc_lo
	v_cmp_eq_u32_e32 vcc_lo, 0x40f, v58
	v_bfe_u32 v25, v1, 20, 11
	s_delay_alu instid0(VALU_DEP_3)
	v_and_or_b32 v17, 0x8000, v19, v18
	s_wait_alu 0xfffd
	v_cndmask_b32_e32 v27, v57, v27, vcc_lo
	v_cmp_eq_u32_e32 vcc_lo, 0x40f, v60
	v_and_b32_e32 v18, 0xffff, v20
	v_and_b32_e32 v17, 0xffff, v17
	s_delay_alu instid0(VALU_DEP_4)
	v_and_or_b32 v19, 0x8000, v28, v27
	s_wait_alu 0xfffd
	v_cndmask_b32_e32 v29, v59, v29, vcc_lo
	v_cmp_eq_u32_e32 vcc_lo, 0x40f, v62
	v_and_b32_e32 v10, 0xffff, v10
	v_lshl_or_b32 v12, v12, 16, v18
	s_delay_alu instid0(VALU_DEP_2)
	v_lshl_or_b32 v10, v11, 16, v10
	v_lshl_or_b32 v11, v16, 16, v13
	s_wait_alu 0xfffd
	v_cndmask_b32_e32 v13, v61, v32, vcc_lo
	v_cmp_ne_u32_e32 vcc_lo, 0, v2
	s_clause 0x2
	global_store_b32 v[14:15], v12, off
	global_store_b32 v[23:24], v10, off
	;; [unrolled: 1-line block ×3, first 2 shown]
	v_or_b32_e32 v14, v96, v63
	v_lshl_or_b32 v15, v64, 12, v34
	ds_load_2addr_b32 v[10:11], v5 offset0:28 offset1:160
	s_wait_alu 0xfffd
	v_cndmask_b32_e64 v2, 0, 1, vcc_lo
	v_cmp_gt_i32_e32 vcc_lo, 1, v64
	v_lshl_or_b32 v16, v19, 16, v17
	v_and_or_b32 v12, 0x8000, v30, v29
	v_lshrrev_b32_e32 v17, 8, v3
	v_bfe_u32 v5, v3, 20, 11
	s_wait_alu 0xfffd
	v_cndmask_b32_e32 v14, v15, v14, vcc_lo
	v_and_or_b32 v13, 0x8000, v33, v13
	v_and_b32_e32 v12, 0xffff, v12
	v_and_or_b32 v2, 0xffe, v17, v2
	v_sub_nc_u32_e32 v15, 0x3f1, v5
	global_store_b32 v[44:45], v16, off
	v_and_b32_e32 v16, 7, v14
	v_lshl_or_b32 v18, v13, 16, v12
	v_or_b32_e32 v17, 0x1000, v2
	v_med3_i32 v15, v15, 0, 13
	v_add_co_u32 v12, vcc_lo, v44, s22
	s_wait_alu 0xfffd
	v_add_co_ci_u32_e32 v13, vcc_lo, s23, v45, vcc_lo
	v_cmp_lt_i32_e32 vcc_lo, 5, v16
	v_cmp_eq_u32_e64 s0, 3, v16
	v_lshrrev_b32_e32 v16, v15, v17
	v_lshrrev_b32_e32 v14, 2, v14
	s_wait_dscnt 0x0
	v_lshrrev_b32_e32 v19, 16, v10
	v_add_nc_u32_e32 v5, 0xfffffc10, v5
	s_or_b32 vcc_lo, s0, vcc_lo
	v_lshlrev_b32_e32 v22, v15, v16
	s_wait_alu 0xfffe
	v_add_co_ci_u32_e32 v23, vcc_lo, 0, v14, vcc_lo
	v_mul_f64_e32 v[14:15], s[24:25], v[46:47]
	v_mul_f16_e32 v24, v19, v21
	v_cmp_ne_u32_e32 vcc_lo, v22, v17
	global_load_b32 v20, v31, s[20:21] offset:5808
	v_lshrrev_b32_e32 v22, 8, v1
	v_lshl_or_b32 v27, v5, 12, v2
	v_fmac_f16_e32 v24, v10, v9
	s_wait_alu 0xfffd
	v_cndmask_b32_e64 v17, 0, 1, vcc_lo
	v_cmp_ne_u32_e32 vcc_lo, 0, v0
	global_store_b32 v[12:13], v18, off
	v_mul_f16_e32 v10, v10, v21
	v_cvt_f32_f16_e32 v24, v24
	v_or_b32_e32 v26, v16, v17
	s_wait_alu 0xfffd
	v_cndmask_b32_e64 v0, 0, 1, vcc_lo
	v_cmp_ne_u32_e32 vcc_lo, 0, v34
	v_fma_f16 v9, v9, v19, -v10
	v_cvt_f64_f32_e32 v[16:17], v24
	v_lshrrev_b32_e32 v3, 16, v3
	v_and_or_b32 v0, 0xffe, v22, v0
	s_wait_alu 0xfffd
	v_cndmask_b32_e64 v24, 0, 1, vcc_lo
	v_cmp_gt_i32_e32 vcc_lo, 1, v5
	v_sub_nc_u32_e32 v22, 0x3f1, v25
	v_cvt_f32_f16_e32 v9, v9
	v_lshrrev_b32_e32 v1, 16, v1
	v_lshl_or_b32 v24, v24, 9, 0x7c00
	s_wait_alu 0xfffd
	v_cndmask_b32_e32 v26, v27, v26, vcc_lo
	v_cmp_gt_i32_e32 vcc_lo, 31, v64
	v_or_b32_e32 v27, 0x1000, v0
	v_med3_i32 v22, v22, 0, 13
	v_cvt_f64_f32_e32 v[9:10], v9
	s_wait_alu 0xfffd
	v_dual_cndmask_b32 v23, 0x7c00, v23 :: v_dual_and_b32 v28, 7, v26
	v_cmp_eq_u32_e32 vcc_lo, 0x40f, v64
	v_lshrrev_b32_e32 v18, v22, v27
	v_lshrrev_b32_e32 v26, 2, v26
	s_delay_alu instid0(VALU_DEP_4)
	v_cmp_eq_u32_e64 s0, 3, v28
	s_wait_alu 0xfffd
	v_cndmask_b32_e32 v23, v23, v24, vcc_lo
	v_cmp_lt_i32_e32 vcc_lo, 5, v28
	v_lshlrev_b32_e32 v22, v22, v18
	v_and_or_b32 v14, 0x1ff, v15, v14
	v_lshrrev_b32_e32 v24, 16, v35
	s_or_b32 vcc_lo, s0, vcc_lo
	s_delay_alu instid0(VALU_DEP_3)
	v_cmp_ne_u32_e64 s1, v22, v27
	v_add_nc_u32_e32 v22, 0xfffffc10, v25
	s_wait_alu 0xfffe
	v_add_co_ci_u32_e32 v19, vcc_lo, 0, v26, vcc_lo
	v_cmp_ne_u32_e32 vcc_lo, 0, v14
	s_wait_alu 0xf1ff
	v_cndmask_b32_e64 v21, 0, 1, s1
	v_lshrrev_b32_e32 v25, 8, v15
	v_bfe_u32 v26, v15, 20, 11
	v_cmp_eq_u32_e64 s1, 0x40f, v22
	s_wait_alu 0xfffd
	v_cndmask_b32_e64 v14, 0, 1, vcc_lo
	v_cmp_ne_u32_e32 vcc_lo, 0, v2
	v_or_b32_e32 v18, v18, v21
	v_lshl_or_b32 v21, v22, 12, v0
	v_mul_f64_e32 v[16:17], s[24:25], v[16:17]
	v_and_or_b32 v14, 0xffe, v25, v14
	s_wait_alu 0xfffd
	v_cndmask_b32_e64 v2, 0, 1, vcc_lo
	v_cmp_gt_i32_e32 vcc_lo, 1, v22
	s_delay_alu instid0(VALU_DEP_3) | instskip(NEXT) | instid1(VALU_DEP_3)
	v_or_b32_e32 v27, 0x1000, v14
	v_lshl_or_b32 v2, v2, 9, 0x7c00
	s_wait_alu 0xfffd
	v_cndmask_b32_e32 v18, v21, v18, vcc_lo
	v_cmp_gt_i32_e32 vcc_lo, 31, v5
	v_sub_nc_u32_e32 v21, 0x3f1, v26
	s_delay_alu instid0(VALU_DEP_3)
	v_and_b32_e32 v25, 7, v18
	s_wait_alu 0xfffd
	v_cndmask_b32_e32 v19, 0x7c00, v19, vcc_lo
	v_cmp_eq_u32_e32 vcc_lo, 0x40f, v5
	v_med3_i32 v21, v21, 0, 13
	v_and_or_b32 v5, 0x8000, v24, v23
	v_cmp_eq_u32_e64 s0, 3, v25
	v_lshrrev_b32_e32 v23, 16, v11
	s_wait_alu 0xfffd
	v_cndmask_b32_e32 v2, v19, v2, vcc_lo
	v_lshrrev_b32_e32 v19, v21, v27
	v_cmp_lt_i32_e32 vcc_lo, 5, v25
	v_and_b32_e32 v5, 0xffff, v5
	s_wait_loadcnt 0x3
	v_lshrrev_b32_e32 v24, 16, v7
	v_and_or_b32 v2, 0x8000, v3, v2
	v_lshrrev_b32_e32 v3, 2, v18
	v_lshlrev_b32_e32 v18, v21, v19
	s_or_b32 vcc_lo, s0, vcc_lo
	s_delay_alu instid0(VALU_DEP_3)
	v_lshl_or_b32 v21, v2, 16, v5
	s_wait_alu 0xfffe
	v_add_co_ci_u32_e32 v3, vcc_lo, 0, v3, vcc_lo
	v_cmp_ne_u32_e32 vcc_lo, v18, v27
	v_add_nc_u32_e32 v18, 0xfffffc10, v26
	s_wait_alu 0xfffd
	v_cndmask_b32_e64 v2, 0, 1, vcc_lo
	v_cmp_gt_i32_e32 vcc_lo, 31, v22
	v_bfe_u32 v25, v17, 20, 11
	s_delay_alu instid0(VALU_DEP_3)
	v_or_b32_e32 v19, v19, v2
	s_wait_alu 0xfffd
	v_cndmask_b32_e32 v5, 0x7c00, v3, vcc_lo
	v_cmp_ne_u32_e32 vcc_lo, 0, v0
	v_mul_f64_e32 v[2:3], s[24:25], v[9:10]
	v_lshl_or_b32 v9, v18, 12, v14
	v_and_or_b32 v10, 0x1ff, v17, v16
	v_mul_f16_e32 v16, v23, v24
	s_wait_alu 0xfffd
	v_cndmask_b32_e64 v0, 0, 1, vcc_lo
	v_cmp_gt_i32_e32 vcc_lo, 1, v18
	v_sub_nc_u32_e32 v28, 0x3f1, v25
	v_fmac_f16_e32 v16, v11, v7
	s_delay_alu instid0(VALU_DEP_4)
	v_lshl_or_b32 v0, v0, 9, 0x7c00
	s_wait_alu 0xfffd
	v_cndmask_b32_e32 v19, v9, v19, vcc_lo
	v_cmp_ne_u32_e32 vcc_lo, 0, v10
	v_lshrrev_b32_e32 v10, 8, v17
	v_cvt_f32_f16_e32 v16, v16
	v_cndmask_b32_e64 v0, v5, v0, s1
	v_and_b32_e32 v26, 7, v19
	s_wait_alu 0xfffd
	v_cndmask_b32_e64 v9, 0, 1, vcc_lo
	v_lshrrev_b32_e32 v5, 2, v19
	v_mul_f16_e32 v11, v11, v24
	v_and_or_b32 v22, 0x8000, v1, v0
	v_cmp_lt_i32_e32 vcc_lo, 5, v26
	v_and_or_b32 v27, 0xffe, v10, v9
	v_cvt_f64_f32_e32 v[9:10], v16
	v_cmp_eq_u32_e64 s0, 3, v26
	v_med3_i32 v26, v28, 0, 13
	v_fma_f16 v7, v7, v23, -v11
	v_or_b32_e32 v16, 0x1000, v27
	v_and_b32_e32 v22, 0xffff, v22
	s_or_b32 vcc_lo, s0, vcc_lo
	v_lshrrev_b32_e32 v17, 16, v17
	s_wait_alu 0xfffe
	v_add_co_ci_u32_e32 v5, vcc_lo, 0, v5, vcc_lo
	v_lshrrev_b32_e32 v19, v26, v16
	v_cmp_ne_u32_e32 vcc_lo, 0, v14
	v_cvt_f32_f16_e32 v7, v7
	s_delay_alu instid0(VALU_DEP_3)
	v_lshlrev_b32_e32 v0, v26, v19
	s_wait_alu 0xfffd
	v_cndmask_b32_e64 v14, 0, 1, vcc_lo
	v_cmp_gt_i32_e32 vcc_lo, 31, v18
	v_and_or_b32 v1, 0x1ff, v3, v2
	v_add_nc_u32_e32 v2, 0xfffffc10, v25
	v_bfe_u32 v24, v3, 20, 11
	v_lshl_or_b32 v14, v14, 9, 0x7c00
	s_wait_alu 0xfffd
	v_cndmask_b32_e32 v5, 0x7c00, v5, vcc_lo
	v_cmp_ne_u32_e32 vcc_lo, v0, v16
	v_lshrrev_b32_e32 v16, 8, v3
	v_lshl_or_b32 v11, v2, 12, v27
	s_wait_alu 0xfffd
	v_cndmask_b32_e64 v0, 0, 1, vcc_lo
	v_cmp_ne_u32_e32 vcc_lo, 0, v1
	s_delay_alu instid0(VALU_DEP_2) | instskip(SKIP_3) | instid1(VALU_DEP_2)
	v_or_b32_e32 v0, v19, v0
	s_wait_alu 0xfffd
	v_cndmask_b32_e64 v1, 0, 1, vcc_lo
	v_cmp_gt_i32_e32 vcc_lo, 1, v2
	v_and_or_b32 v16, 0xffe, v16, v1
	v_sub_nc_u32_e32 v1, 0x3f1, v24
	s_wait_alu 0xfffd
	v_cndmask_b32_e32 v19, v11, v0, vcc_lo
	v_cmp_eq_u32_e32 vcc_lo, 0x40f, v18
	v_or_b32_e32 v23, 0x1000, v16
	v_med3_i32 v25, v1, 0, 13
	v_mul_f64_e32 v[0:1], s[24:25], v[9:10]
	v_cvt_f64_f32_e32 v[9:10], v7
	s_wait_alu 0xfffd
	v_cndmask_b32_e32 v7, v5, v14, vcc_lo
	ds_load_2addr_b32 v[4:5], v4 offset0:36 offset1:168
	v_lshrrev_b32_e32 v18, v25, v23
	v_lshrrev_b32_e32 v14, 16, v15
	v_and_b32_e32 v15, 7, v19
	v_add_co_u32 v11, vcc_lo, v12, s22
	s_wait_alu 0xfffd
	v_add_co_ci_u32_e32 v12, vcc_lo, s23, v13, vcc_lo
	v_lshlrev_b32_e32 v13, v25, v18
	v_cmp_lt_i32_e32 vcc_lo, 5, v15
	v_cmp_eq_u32_e64 s0, 3, v15
	v_and_or_b32 v7, 0x8000, v14, v7
	v_lshrrev_b32_e32 v14, 2, v19
	v_cmp_ne_u32_e64 s1, v13, v23
	v_add_nc_u32_e32 v15, 0xfffffc10, v24
	s_or_b32 vcc_lo, s0, vcc_lo
	s_wait_loadcnt 0x2
	v_lshrrev_b32_e32 v23, 16, v6
	s_wait_alu 0xfffe
	v_add_co_ci_u32_e32 v14, vcc_lo, 0, v14, vcc_lo
	v_cndmask_b32_e64 v13, 0, 1, s1
	s_wait_dscnt 0x0
	v_lshrrev_b32_e32 v19, 16, v4
	v_cmp_ne_u32_e32 vcc_lo, 0, v27
	v_lshl_or_b32 v22, v7, 16, v22
	v_or_b32_e32 v13, v18, v13
	v_lshl_or_b32 v18, v15, 12, v16
	s_wait_alu 0xfffd
	v_cndmask_b32_e64 v24, 0, 1, vcc_lo
	v_mul_f16_e32 v25, v19, v23
	v_cmp_gt_i32_e32 vcc_lo, 1, v15
	s_delay_alu instid0(VALU_DEP_2)
	v_fmac_f16_e32 v25, v4, v6
	s_wait_alu 0xfffd
	v_cndmask_b32_e32 v18, v18, v13, vcc_lo
	v_cmp_gt_i32_e32 vcc_lo, 31, v2
	v_and_or_b32 v0, 0x1ff, v1, v0
	v_mul_f64_e32 v[9:10], s[24:25], v[9:10]
	v_cvt_f32_f16_e32 v25, v25
	v_bfe_u32 v26, v1, 20, 11
	s_wait_alu 0xfffd
	v_cndmask_b32_e32 v13, 0x7c00, v14, vcc_lo
	v_lshl_or_b32 v14, v24, 9, 0x7c00
	v_cmp_eq_u32_e32 vcc_lo, 0x40f, v2
	v_and_b32_e32 v24, 7, v18
	v_cmp_ne_u32_e64 s0, 0, v0
	v_lshrrev_b32_e32 v18, 2, v18
	v_mul_f16_e32 v4, v4, v23
	s_wait_alu 0xfffd
	v_cndmask_b32_e32 v2, v13, v14, vcc_lo
	v_cvt_f64_f32_e32 v[13:14], v25
	v_cmp_lt_i32_e32 vcc_lo, 5, v24
	s_wait_alu 0xf1ff
	v_cndmask_b32_e64 v0, 0, 1, s0
	v_cmp_eq_u32_e64 s0, 3, v24
	v_lshrrev_b32_e32 v25, 8, v1
	v_sub_nc_u32_e32 v24, 0x3f1, v26
	v_and_or_b32 v17, 0x8000, v17, v2
	v_fma_f16 v4, v6, v19, -v4
	s_or_b32 vcc_lo, s0, vcc_lo
	v_and_or_b32 v0, 0xffe, v25, v0
	s_wait_alu 0xfffe
	v_add_co_ci_u32_e32 v18, vcc_lo, 0, v18, vcc_lo
	v_cmp_ne_u32_e32 vcc_lo, 0, v16
	v_med3_i32 v24, v24, 0, 13
	v_or_b32_e32 v25, 0x1000, v0
	v_cvt_f32_f16_e32 v4, v4
	v_lshrrev_b32_e32 v1, 16, v1
	s_wait_alu 0xfffd
	v_cndmask_b32_e64 v16, 0, 1, vcc_lo
	v_cmp_gt_i32_e32 vcc_lo, 31, v15
	v_lshrrev_b32_e32 v7, v24, v25
	s_delay_alu instid0(VALU_DEP_3)
	v_lshl_or_b32 v16, v16, 9, 0x7c00
	s_wait_alu 0xfffd
	v_cndmask_b32_e32 v18, 0x7c00, v18, vcc_lo
	v_cmp_eq_u32_e32 vcc_lo, 0x40f, v15
	v_and_or_b32 v9, 0x1ff, v10, v9
	v_lshrrev_b32_e32 v6, 8, v10
	s_wait_alu 0xfffd
	v_dual_cndmask_b32 v15, v18, v16 :: v_dual_lshlrev_b32 v18, v24, v7
	v_add_co_u32 v2, vcc_lo, v11, s22
	v_lshrrev_b32_e32 v16, 16, v3
	s_wait_alu 0xfffd
	v_add_co_ci_u32_e32 v3, vcc_lo, s23, v12, vcc_lo
	v_cmp_ne_u32_e32 vcc_lo, v18, v25
	v_add_nc_u32_e32 v18, 0xfffffc10, v26
	v_and_or_b32 v15, 0x8000, v16, v15
	v_and_b32_e32 v16, 0xffff, v17
	v_mul_f64_e32 v[13:14], s[24:25], v[13:14]
	s_wait_alu 0xfffd
	v_cndmask_b32_e64 v17, 0, 1, vcc_lo
	v_cmp_ne_u32_e32 vcc_lo, 0, v9
	v_bfe_u32 v19, v10, 20, 11
	global_store_b32 v[11:12], v21, off
	global_store_b32 v[2:3], v22, off
	v_lshl_or_b32 v16, v15, 16, v16
	v_or_b32_e32 v7, v7, v17
	s_wait_alu 0xfffd
	v_cndmask_b32_e64 v9, 0, 1, vcc_lo
	v_lshl_or_b32 v17, v18, 12, v0
	v_cmp_gt_i32_e32 vcc_lo, 1, v18
	v_sub_nc_u32_e32 v23, 0x3f1, v19
	v_lshrrev_b32_e32 v21, 16, v5
	v_and_or_b32 v9, 0xffe, v6, v9
	s_wait_loadcnt 0x1
	v_lshrrev_b32_e32 v22, 16, v8
	s_wait_alu 0xfffd
	v_cndmask_b32_e32 v17, v17, v7, vcc_lo
	v_cvt_f64_f32_e32 v[6:7], v4
	v_med3_i32 v23, v23, 0, 13
	v_or_b32_e32 v4, 0x1000, v9
	v_add_co_u32 v2, vcc_lo, v2, s22
	v_and_b32_e32 v11, 7, v17
	s_wait_alu 0xfffd
	v_add_co_ci_u32_e32 v3, vcc_lo, s23, v3, vcc_lo
	v_lshrrev_b32_e32 v12, v23, v4
	v_lshrrev_b32_e32 v10, 16, v10
	v_cmp_lt_i32_e32 vcc_lo, 5, v11
	v_cmp_eq_u32_e64 s0, 3, v11
	v_lshrrev_b32_e32 v11, 2, v17
	v_lshlrev_b32_e32 v15, v23, v12
	v_mul_f16_e32 v17, v21, v22
	s_delay_alu instid0(VALU_DEP_4) | instskip(NEXT) | instid1(VALU_DEP_2)
	s_or_b32 vcc_lo, s0, vcc_lo
	v_cmp_ne_u32_e64 s1, v15, v4
	v_add_nc_u32_e32 v15, 0xfffffc10, v19
	s_wait_alu 0xfffe
	v_add_co_ci_u32_e32 v19, vcc_lo, 0, v11, vcc_lo
	v_cmp_ne_u32_e32 vcc_lo, 0, v0
	s_wait_alu 0xf1ff
	v_cndmask_b32_e64 v4, 0, 1, s1
	v_fmac_f16_e32 v17, v5, v8
	v_lshl_or_b32 v11, v15, 12, v9
	v_lshrrev_b32_e32 v23, 8, v14
	s_wait_alu 0xfffd
	v_cndmask_b32_e64 v0, 0, 1, vcc_lo
	v_or_b32_e32 v4, v12, v4
	v_and_or_b32 v12, 0x1ff, v14, v13
	v_cmp_gt_i32_e32 vcc_lo, 1, v15
	v_cvt_f32_f16_e32 v13, v17
	v_lshl_or_b32 v0, v0, 9, 0x7c00
	v_cmp_eq_u32_e64 s1, 0x40f, v18
	s_wait_alu 0xfffd
	v_cndmask_b32_e32 v4, v11, v4, vcc_lo
	v_cmp_ne_u32_e32 vcc_lo, 0, v12
	v_cvt_f64_f32_e32 v[11:12], v13
	v_mul_f64_e32 v[6:7], s[24:25], v[6:7]
	v_bfe_u32 v13, v14, 20, 11
	v_and_b32_e32 v24, 7, v4
	s_wait_alu 0xfffd
	v_cndmask_b32_e64 v17, 0, 1, vcc_lo
	v_cmp_gt_i32_e32 vcc_lo, 31, v18
	v_lshrrev_b32_e32 v4, 2, v4
	v_cmp_eq_u32_e64 s0, 3, v24
	s_delay_alu instid0(VALU_DEP_4)
	v_and_or_b32 v17, 0xffe, v23, v17
	v_sub_nc_u32_e32 v23, 0x3f1, v13
	s_wait_alu 0xfffd
	v_cndmask_b32_e32 v19, 0x7c00, v19, vcc_lo
	v_cmp_lt_i32_e32 vcc_lo, 5, v24
	v_or_b32_e32 v24, 0x1000, v17
	v_med3_i32 v23, v23, 0, 13
	s_wait_alu 0xf1ff
	v_cndmask_b32_e64 v0, v19, v0, s1
	s_or_b32 vcc_lo, s0, vcc_lo
	s_wait_alu 0xfffe
	v_add_co_ci_u32_e32 v4, vcc_lo, 0, v4, vcc_lo
	v_lshrrev_b32_e32 v18, v23, v24
	v_cmp_ne_u32_e32 vcc_lo, 0, v9
	v_and_or_b32 v19, 0x8000, v1, v0
	s_delay_alu instid0(VALU_DEP_3)
	v_lshlrev_b32_e32 v0, v23, v18
	s_wait_alu 0xfffd
	v_cndmask_b32_e64 v9, 0, 1, vcc_lo
	v_cmp_gt_i32_e32 vcc_lo, 31, v15
	v_and_b32_e32 v19, 0xffff, v19
	s_wait_alu 0xfffd
	v_cndmask_b32_e32 v1, 0x7c00, v4, vcc_lo
	v_cmp_ne_u32_e32 vcc_lo, v0, v24
	v_lshl_or_b32 v4, v9, 9, 0x7c00
	v_add_nc_u32_e32 v9, 0x1600, v31
	v_add_nc_u32_e32 v24, 0xfffffc10, v13
	s_wait_alu 0xfffd
	v_cndmask_b32_e64 v23, 0, 1, vcc_lo
	v_cmp_eq_u32_e32 vcc_lo, 0x40f, v15
	v_mul_f16_e32 v15, v5, v22
	v_and_or_b32 v6, 0x1ff, v7, v6
	s_wait_alu 0xfffd
	v_cndmask_b32_e32 v13, v1, v4, vcc_lo
	ds_load_2addr_b32 v[0:1], v9 offset0:44 offset1:176
	v_or_b32_e32 v9, v18, v23
	v_lshl_or_b32 v18, v24, 12, v17
	v_cmp_gt_i32_e32 vcc_lo, 1, v24
	v_mul_f64_e32 v[4:5], s[24:25], v[11:12]
	v_fma_f16 v8, v8, v21, -v15
	v_bfe_u32 v12, v7, 20, 11
	v_and_or_b32 v10, 0x8000, v10, v13
	s_wait_alu 0xfffd
	v_cndmask_b32_e32 v11, v18, v9, vcc_lo
	v_cmp_ne_u32_e32 vcc_lo, 0, v6
	v_lshrrev_b32_e32 v9, 8, v7
	v_cvt_f32_f16_e32 v8, v8
	v_sub_nc_u32_e32 v15, 0x3f1, v12
	v_and_b32_e32 v13, 7, v11
	s_wait_alu 0xfffd
	v_cndmask_b32_e64 v6, 0, 1, vcc_lo
	s_wait_loadcnt 0x0
	v_lshrrev_b32_e32 v21, 16, v20
	v_lshl_or_b32 v19, v10, 16, v19
	v_lshrrev_b32_e32 v10, 2, v11
	v_cmp_lt_i32_e32 vcc_lo, 5, v13
	v_and_or_b32 v6, 0xffe, v9, v6
	v_cvt_f64_f32_e32 v[8:9], v8
	s_wait_dscnt 0x0
	v_lshrrev_b32_e32 v18, 16, v0
	v_cmp_eq_u32_e64 s0, 3, v13
	v_med3_i32 v15, v15, 0, 13
	v_or_b32_e32 v22, 0x1000, v6
	s_delay_alu instid0(VALU_DEP_4) | instskip(NEXT) | instid1(VALU_DEP_4)
	v_mul_f16_e32 v23, v18, v21
	s_or_b32 vcc_lo, s0, vcc_lo
	s_wait_alu 0xfffe
	v_add_co_ci_u32_e32 v10, vcc_lo, 0, v10, vcc_lo
	v_lshrrev_b32_e32 v13, v15, v22
	v_fmac_f16_e32 v23, v0, v20
	v_cmp_ne_u32_e32 vcc_lo, 0, v17
	v_mul_f16_e32 v0, v0, v21
	s_delay_alu instid0(VALU_DEP_4) | instskip(NEXT) | instid1(VALU_DEP_4)
	v_lshlrev_b32_e32 v15, v15, v13
	v_cvt_f32_f16_e32 v17, v23
	s_wait_alu 0xfffd
	v_cndmask_b32_e64 v11, 0, 1, vcc_lo
	v_cmp_gt_i32_e32 vcc_lo, 31, v24
	v_fma_f16 v0, v20, v18, -v0
	v_and_or_b32 v4, 0x1ff, v5, v4
	s_delay_alu instid0(VALU_DEP_4)
	v_lshl_or_b32 v25, v11, 9, 0x7c00
	s_wait_alu 0xfffd
	v_cndmask_b32_e32 v23, 0x7c00, v10, vcc_lo
	v_cvt_f64_f32_e32 v[10:11], v17
	v_cmp_ne_u32_e32 vcc_lo, v15, v22
	v_add_nc_u32_e32 v17, 0xfffffc10, v12
	v_lshrrev_b32_e32 v12, 8, v5
	v_bfe_u32 v21, v5, 20, 11
	v_cvt_f32_f16_e32 v0, v0
	s_wait_alu 0xfffd
	v_cndmask_b32_e64 v15, 0, 1, vcc_lo
	v_cmp_ne_u32_e32 vcc_lo, 0, v4
	v_lshrrev_b32_e32 v5, 16, v5
	s_delay_alu instid0(VALU_DEP_3)
	v_or_b32_e32 v13, v13, v15
	s_wait_alu 0xfffd
	v_cndmask_b32_e64 v4, 0, 1, vcc_lo
	v_lshl_or_b32 v15, v17, 12, v6
	v_cmp_gt_i32_e32 vcc_lo, 1, v17
	v_mul_f64_e32 v[8:9], s[24:25], v[8:9]
	s_delay_alu instid0(VALU_DEP_4)
	v_and_or_b32 v4, 0xffe, v12, v4
	v_sub_nc_u32_e32 v12, 0x3f1, v21
	s_wait_alu 0xfffd
	v_cndmask_b32_e32 v18, v15, v13, vcc_lo
	v_cmp_eq_u32_e32 vcc_lo, 0x40f, v24
	v_add_nc_u32_e32 v21, 0xfffffc10, v21
	v_or_b32_e32 v20, 0x1000, v4
	v_med3_i32 v22, v12, 0, 13
	v_cvt_f64_f32_e32 v[12:13], v0
	v_and_b32_e32 v24, 7, v18
	s_wait_alu 0xfffd
	v_cndmask_b32_e32 v0, v23, v25, vcc_lo
	v_lshrrev_b32_e32 v23, 16, v14
	v_add_co_u32 v14, vcc_lo, v2, s22
	v_lshrrev_b32_e32 v25, v22, v20
	s_wait_alu 0xfffd
	v_add_co_ci_u32_e32 v15, vcc_lo, s23, v3, vcc_lo
	v_cmp_lt_i32_e32 vcc_lo, 5, v24
	v_cmp_eq_u32_e64 s0, 3, v24
	v_lshlrev_b32_e32 v22, v22, v25
	v_lshrrev_b32_e32 v18, 2, v18
	v_and_or_b32 v0, 0x8000, v23, v0
	v_mul_f64_e32 v[10:11], s[24:25], v[10:11]
	s_or_b32 vcc_lo, s0, vcc_lo
	v_cmp_ne_u32_e64 s1, v22, v20
	s_wait_alu 0xfffe
	v_add_co_ci_u32_e32 v18, vcc_lo, 0, v18, vcc_lo
	v_cmp_ne_u32_e32 vcc_lo, 0, v6
	v_lshl_or_b32 v22, v21, 12, v4
	s_wait_alu 0xf1ff
	v_cndmask_b32_e64 v20, 0, 1, s1
	v_and_b32_e32 v0, 0xffff, v0
	s_wait_alu 0xfffd
	v_cndmask_b32_e64 v6, 0, 1, vcc_lo
	v_cmp_gt_i32_e32 vcc_lo, 31, v17
	v_or_b32_e32 v20, v25, v20
	s_delay_alu instid0(VALU_DEP_3)
	v_lshl_or_b32 v6, v6, 9, 0x7c00
	s_wait_alu 0xfffd
	v_cndmask_b32_e32 v18, 0x7c00, v18, vcc_lo
	v_cmp_gt_i32_e32 vcc_lo, 1, v21
	v_and_or_b32 v8, 0x1ff, v9, v8
	v_lshrrev_b32_e32 v23, 8, v9
	s_wait_alu 0xfffd
	v_cndmask_b32_e32 v20, v22, v20, vcc_lo
	v_cmp_eq_u32_e32 vcc_lo, 0x40f, v17
	s_wait_alu 0xfffd
	s_delay_alu instid0(VALU_DEP_2)
	v_dual_cndmask_b32 v17, v18, v6 :: v_dual_and_b32 v22, 7, v20
	v_lshrrev_b32_e32 v18, 16, v7
	v_cmp_ne_u32_e32 vcc_lo, 0, v8
	v_mul_f64_e32 v[6:7], s[24:25], v[12:13]
	v_bfe_u32 v12, v9, 20, 11
	v_cmp_eq_u32_e64 s0, 3, v22
	v_and_or_b32 v13, 0x8000, v18, v17
	s_wait_alu 0xfffd
	v_cndmask_b32_e64 v8, 0, 1, vcc_lo
	v_cmp_lt_i32_e32 vcc_lo, 5, v22
	v_sub_nc_u32_e32 v17, 0x3f1, v12
	v_and_or_b32 v10, 0x1ff, v11, v10
	v_lshl_or_b32 v0, v13, 16, v0
	v_lshrrev_b32_e32 v13, 2, v20
	v_and_or_b32 v8, 0xffe, v23, v8
	s_or_b32 vcc_lo, s0, vcc_lo
	v_med3_i32 v17, v17, 0, 13
	v_lshrrev_b32_e32 v22, 8, v11
	s_wait_alu 0xfffe
	v_add_co_ci_u32_e32 v13, vcc_lo, 0, v13, vcc_lo
	v_or_b32_e32 v18, 0x1000, v8
	v_cmp_ne_u32_e32 vcc_lo, 0, v4
	v_bfe_u32 v23, v11, 20, 11
	v_add_nc_u32_e32 v12, 0xfffffc10, v12
	v_lshrrev_b32_e32 v9, 16, v9
	v_lshrrev_b32_e32 v20, v17, v18
	s_wait_alu 0xfffd
	v_cndmask_b32_e64 v4, 0, 1, vcc_lo
	v_cmp_gt_i32_e32 vcc_lo, 31, v21
	v_lshrrev_b32_e32 v11, 16, v11
	v_lshlrev_b32_e32 v17, v17, v20
	s_delay_alu instid0(VALU_DEP_4)
	v_lshl_or_b32 v4, v4, 9, 0x7c00
	s_wait_alu 0xfffd
	v_cndmask_b32_e32 v13, 0x7c00, v13, vcc_lo
	v_cmp_ne_u32_e32 vcc_lo, 0, v10
	s_wait_alu 0xfffd
	v_cndmask_b32_e64 v10, 0, 1, vcc_lo
	v_cmp_ne_u32_e32 vcc_lo, v17, v18
	v_sub_nc_u32_e32 v18, 0x3f1, v23
	v_and_or_b32 v6, 0x1ff, v7, v6
	s_delay_alu instid0(VALU_DEP_4)
	v_and_or_b32 v10, 0xffe, v22, v10
	s_wait_alu 0xfffd
	v_cndmask_b32_e64 v17, 0, 1, vcc_lo
	v_cmp_eq_u32_e32 vcc_lo, 0x40f, v21
	v_med3_i32 v18, v18, 0, 13
	v_lshrrev_b32_e32 v21, 8, v7
	v_bfe_u32 v22, v7, 20, 11
	v_lshrrev_b32_e32 v7, 16, v7
	s_wait_alu 0xfffd
	v_cndmask_b32_e32 v4, v13, v4, vcc_lo
	v_or_b32_e32 v13, v20, v17
	v_lshl_or_b32 v17, v12, 12, v8
	v_or_b32_e32 v20, 0x1000, v10
	v_cmp_gt_i32_e32 vcc_lo, 1, v12
	v_and_or_b32 v4, 0x8000, v5, v4
	s_wait_alu 0xfffd
	v_cndmask_b32_e32 v13, v17, v13, vcc_lo
	v_lshrrev_b32_e32 v17, v18, v20
	v_cmp_ne_u32_e32 vcc_lo, 0, v6
	s_delay_alu instid0(VALU_DEP_3) | instskip(NEXT) | instid1(VALU_DEP_3)
	v_and_b32_e32 v24, 7, v13
	v_lshlrev_b32_e32 v18, v18, v17
	s_wait_alu 0xfffd
	v_cndmask_b32_e64 v6, 0, 1, vcc_lo
	v_lshrrev_b32_e32 v13, 2, v13
	v_cmp_lt_i32_e32 vcc_lo, 5, v24
	v_cmp_ne_u32_e64 s0, v18, v20
	s_delay_alu instid0(VALU_DEP_4)
	v_and_or_b32 v5, 0xffe, v21, v6
	v_sub_nc_u32_e32 v6, 0x3f1, v22
	v_add_nc_u32_e32 v21, 0xfffffc10, v23
	s_wait_alu 0xf1ff
	v_cndmask_b32_e64 v18, 0, 1, s0
	v_cmp_eq_u32_e64 s0, 3, v24
	v_or_b32_e32 v20, 0x1000, v5
	v_med3_i32 v6, v6, 0, 13
	v_lshl_or_b32 v23, v21, 12, v10
	v_or_b32_e32 v17, v17, v18
	s_or_b32 vcc_lo, s0, vcc_lo
	s_wait_alu 0xfffe
	v_add_co_ci_u32_e32 v13, vcc_lo, 0, v13, vcc_lo
	v_lshrrev_b32_e32 v18, v6, v20
	v_cmp_gt_i32_e32 vcc_lo, 1, v21
	s_wait_alu 0xfffd
	s_delay_alu instid0(VALU_DEP_2) | instskip(SKIP_3) | instid1(VALU_DEP_3)
	v_dual_cndmask_b32 v17, v23, v17 :: v_dual_lshlrev_b32 v6, v6, v18
	v_cmp_ne_u32_e32 vcc_lo, 0, v8
	s_wait_alu 0xfffd
	v_cndmask_b32_e64 v8, 0, 1, vcc_lo
	v_cmp_ne_u32_e32 vcc_lo, v6, v20
	v_add_nc_u32_e32 v20, 0xfffffc10, v22
	v_and_b32_e32 v22, 7, v17
	s_delay_alu instid0(VALU_DEP_4)
	v_lshl_or_b32 v8, v8, 9, 0x7c00
	s_wait_alu 0xfffd
	v_cndmask_b32_e64 v6, 0, 1, vcc_lo
	v_cmp_gt_i32_e32 vcc_lo, 31, v12
	v_cmp_gt_i32_e64 s1, 1, v20
	v_cmp_eq_u32_e64 s0, 3, v22
	s_delay_alu instid0(VALU_DEP_4)
	v_or_b32_e32 v6, v18, v6
	v_lshl_or_b32 v18, v20, 12, v5
	s_wait_alu 0xfffd
	v_cndmask_b32_e32 v13, 0x7c00, v13, vcc_lo
	v_cmp_lt_i32_e32 vcc_lo, 5, v22
	s_wait_alu 0xf1ff
	v_cndmask_b32_e64 v6, v18, v6, s1
	v_cmp_eq_u32_e64 s1, 0x40f, v12
	v_lshrrev_b32_e32 v12, 2, v17
	s_or_b32 vcc_lo, s0, vcc_lo
	s_delay_alu instid0(VALU_DEP_2) | instskip(SKIP_1) | instid1(VALU_DEP_2)
	v_cndmask_b32_e64 v8, v13, v8, s1
	s_wait_alu 0xfffe
	v_add_co_ci_u32_e32 v12, vcc_lo, 0, v12, vcc_lo
	v_and_b32_e32 v13, 7, v6
	v_cmp_ne_u32_e32 vcc_lo, 0, v10
	v_lshrrev_b32_e32 v6, 2, v6
	v_cmp_gt_i32_e64 s1, 31, v21
	v_and_or_b32 v8, 0x8000, v9, v8
	v_cmp_eq_u32_e64 s0, 3, v13
	s_wait_alu 0xfffd
	v_cndmask_b32_e64 v10, 0, 1, vcc_lo
	v_cmp_lt_i32_e32 vcc_lo, 5, v13
	s_wait_alu 0xf1ff
	v_cndmask_b32_e64 v12, 0x7c00, v12, s1
	v_and_b32_e32 v9, 0xffff, v4
	v_lshl_or_b32 v10, v10, 9, 0x7c00
	s_or_b32 vcc_lo, s0, vcc_lo
	s_wait_alu 0xfffe
	v_add_co_ci_u32_e32 v6, vcc_lo, 0, v6, vcc_lo
	v_cmp_ne_u32_e32 vcc_lo, 0, v5
	s_wait_alu 0xfffd
	v_cndmask_b32_e64 v5, 0, 1, vcc_lo
	v_cmp_eq_u32_e32 vcc_lo, 0x40f, v21
	s_delay_alu instid0(VALU_DEP_2) | instskip(SKIP_3) | instid1(VALU_DEP_2)
	v_lshl_or_b32 v5, v5, 9, 0x7c00
	s_wait_alu 0xfffd
	v_cndmask_b32_e32 v10, v12, v10, vcc_lo
	v_cmp_gt_i32_e32 vcc_lo, 31, v20
	v_and_or_b32 v10, 0x8000, v11, v10
	s_wait_alu 0xfffd
	v_cndmask_b32_e32 v6, 0x7c00, v6, vcc_lo
	v_cmp_eq_u32_e32 vcc_lo, 0x40f, v20
	v_lshl_or_b32 v11, v8, 16, v9
	s_wait_alu 0xfffd
	s_delay_alu instid0(VALU_DEP_3) | instskip(SKIP_3) | instid1(VALU_DEP_3)
	v_dual_cndmask_b32 v6, v6, v5 :: v_dual_and_b32 v9, 0xffff, v10
	v_add_co_u32 v4, vcc_lo, v14, s22
	s_wait_alu 0xfffd
	v_add_co_ci_u32_e32 v5, vcc_lo, s23, v15, vcc_lo
	v_and_or_b32 v8, 0x8000, v7, v6
	s_delay_alu instid0(VALU_DEP_3) | instskip(SKIP_1) | instid1(VALU_DEP_3)
	v_add_co_u32 v6, vcc_lo, v4, s22
	s_wait_alu 0xfffd
	v_add_co_ci_u32_e32 v7, vcc_lo, s23, v5, vcc_lo
	s_delay_alu instid0(VALU_DEP_3) | instskip(NEXT) | instid1(VALU_DEP_3)
	v_lshl_or_b32 v10, v8, 16, v9
	v_add_co_u32 v8, vcc_lo, v6, s22
	s_wait_alu 0xfffd
	s_delay_alu instid0(VALU_DEP_3)
	v_add_co_ci_u32_e32 v9, vcc_lo, s23, v7, vcc_lo
	global_store_b32 v[2:3], v16, off
	global_store_b32 v[14:15], v19, off
	;; [unrolled: 1-line block ×5, first 2 shown]
	global_load_b32 v0, v31, s[20:21] offset:6336
	v_lshrrev_b32_e32 v2, 16, v1
	s_wait_loadcnt 0x0
	v_lshrrev_b32_e32 v3, 16, v0
	s_delay_alu instid0(VALU_DEP_1) | instskip(SKIP_1) | instid1(VALU_DEP_2)
	v_mul_f16_e32 v4, v2, v3
	v_mul_f16_e32 v3, v1, v3
	v_fmac_f16_e32 v4, v1, v0
	s_delay_alu instid0(VALU_DEP_2) | instskip(NEXT) | instid1(VALU_DEP_2)
	v_fma_f16 v0, v0, v2, -v3
	v_cvt_f32_f16_e32 v1, v4
	s_delay_alu instid0(VALU_DEP_2) | instskip(NEXT) | instid1(VALU_DEP_2)
	v_cvt_f32_f16_e32 v2, v0
	v_cvt_f64_f32_e32 v[0:1], v1
	s_delay_alu instid0(VALU_DEP_2) | instskip(NEXT) | instid1(VALU_DEP_2)
	v_cvt_f64_f32_e32 v[2:3], v2
	v_mul_f64_e32 v[0:1], s[24:25], v[0:1]
	s_delay_alu instid0(VALU_DEP_2) | instskip(NEXT) | instid1(VALU_DEP_2)
	v_mul_f64_e32 v[2:3], s[24:25], v[2:3]
	v_and_or_b32 v0, 0x1ff, v1, v0
	s_delay_alu instid0(VALU_DEP_2)
	v_and_or_b32 v2, 0x1ff, v3, v2
	v_lshrrev_b32_e32 v4, 8, v1
	v_bfe_u32 v5, v1, 20, 11
	v_lshrrev_b32_e32 v6, 8, v3
	v_cmp_ne_u32_e32 vcc_lo, 0, v0
	v_bfe_u32 v7, v3, 20, 11
	v_lshrrev_b32_e32 v1, 16, v1
	v_lshrrev_b32_e32 v3, 16, v3
	s_wait_alu 0xfffd
	v_cndmask_b32_e64 v0, 0, 1, vcc_lo
	v_cmp_ne_u32_e32 vcc_lo, 0, v2
	s_delay_alu instid0(VALU_DEP_2)
	v_and_or_b32 v0, 0xffe, v4, v0
	s_wait_alu 0xfffd
	v_cndmask_b32_e64 v2, 0, 1, vcc_lo
	v_sub_nc_u32_e32 v4, 0x3f1, v5
	v_add_nc_u32_e32 v5, 0xfffffc10, v5
	v_or_b32_e32 v10, 0x1000, v0
	s_delay_alu instid0(VALU_DEP_4) | instskip(SKIP_3) | instid1(VALU_DEP_4)
	v_and_or_b32 v2, 0xffe, v6, v2
	v_sub_nc_u32_e32 v6, 0x3f1, v7
	v_med3_i32 v4, v4, 0, 13
	v_add_nc_u32_e32 v7, 0xfffffc10, v7
	v_or_b32_e32 v11, 0x1000, v2
	s_delay_alu instid0(VALU_DEP_4) | instskip(NEXT) | instid1(VALU_DEP_4)
	v_med3_i32 v6, v6, 0, 13
	v_lshrrev_b32_e32 v12, v4, v10
	s_delay_alu instid0(VALU_DEP_2) | instskip(NEXT) | instid1(VALU_DEP_2)
	v_lshrrev_b32_e32 v13, v6, v11
	v_lshlrev_b32_e32 v4, v4, v12
	s_delay_alu instid0(VALU_DEP_2) | instskip(NEXT) | instid1(VALU_DEP_2)
	v_lshlrev_b32_e32 v6, v6, v13
	v_cmp_ne_u32_e32 vcc_lo, v4, v10
	v_lshl_or_b32 v10, v5, 12, v0
	s_wait_alu 0xfffd
	v_cndmask_b32_e64 v4, 0, 1, vcc_lo
	v_cmp_ne_u32_e32 vcc_lo, v6, v11
	v_lshl_or_b32 v11, v7, 12, v2
	s_delay_alu instid0(VALU_DEP_3) | instskip(SKIP_3) | instid1(VALU_DEP_2)
	v_or_b32_e32 v4, v12, v4
	s_wait_alu 0xfffd
	v_cndmask_b32_e64 v6, 0, 1, vcc_lo
	v_cmp_gt_i32_e32 vcc_lo, 1, v5
	v_or_b32_e32 v6, v13, v6
	s_wait_alu 0xfffd
	v_cndmask_b32_e32 v4, v10, v4, vcc_lo
	v_cmp_gt_i32_e32 vcc_lo, 1, v7
	s_delay_alu instid0(VALU_DEP_2) | instskip(SKIP_3) | instid1(VALU_DEP_3)
	v_and_b32_e32 v10, 7, v4
	s_wait_alu 0xfffd
	v_cndmask_b32_e32 v6, v11, v6, vcc_lo
	v_lshrrev_b32_e32 v4, 2, v4
	v_cmp_lt_i32_e32 vcc_lo, 5, v10
	v_cmp_eq_u32_e64 s0, 3, v10
	s_delay_alu instid0(VALU_DEP_4) | instskip(SKIP_1) | instid1(VALU_DEP_3)
	v_and_b32_e32 v11, 7, v6
	v_lshrrev_b32_e32 v6, 2, v6
	s_or_b32 vcc_lo, s0, vcc_lo
	s_delay_alu instid0(VALU_DEP_2)
	v_cmp_lt_i32_e64 s1, 5, v11
	s_wait_alu 0xfffe
	v_add_co_ci_u32_e32 v4, vcc_lo, 0, v4, vcc_lo
	v_cmp_eq_u32_e64 s2, 3, v11
	v_cmp_ne_u32_e32 vcc_lo, 0, v0
	s_wait_alu 0xfffd
	v_cndmask_b32_e64 v0, 0, 1, vcc_lo
	s_delay_alu instid0(VALU_DEP_3)
	s_or_b32 vcc_lo, s2, s1
	s_wait_alu 0xfffe
	v_add_co_ci_u32_e32 v6, vcc_lo, 0, v6, vcc_lo
	v_cmp_ne_u32_e32 vcc_lo, 0, v2
	v_lshl_or_b32 v0, v0, 9, 0x7c00
	s_wait_alu 0xfffd
	v_cndmask_b32_e64 v2, 0, 1, vcc_lo
	v_cmp_gt_i32_e32 vcc_lo, 31, v5
	s_delay_alu instid0(VALU_DEP_2)
	v_lshl_or_b32 v2, v2, 9, 0x7c00
	s_wait_alu 0xfffd
	v_cndmask_b32_e32 v4, 0x7c00, v4, vcc_lo
	v_cmp_gt_i32_e32 vcc_lo, 31, v7
	s_wait_alu 0xfffd
	v_cndmask_b32_e32 v6, 0x7c00, v6, vcc_lo
	v_cmp_eq_u32_e32 vcc_lo, 0x40f, v5
	s_wait_alu 0xfffd
	v_cndmask_b32_e32 v0, v4, v0, vcc_lo
	v_cmp_eq_u32_e32 vcc_lo, 0x40f, v7
	s_delay_alu instid0(VALU_DEP_2) | instskip(SKIP_2) | instid1(VALU_DEP_2)
	v_and_or_b32 v0, 0x8000, v1, v0
	s_wait_alu 0xfffd
	v_cndmask_b32_e32 v2, v6, v2, vcc_lo
	v_and_b32_e32 v0, 0xffff, v0
	s_delay_alu instid0(VALU_DEP_2) | instskip(NEXT) | instid1(VALU_DEP_1)
	v_and_or_b32 v1, 0x8000, v3, v2
	v_lshl_or_b32 v2, v1, 16, v0
	v_add_co_u32 v0, vcc_lo, v8, s22
	s_wait_alu 0xfffd
	v_add_co_ci_u32_e32 v1, vcc_lo, s23, v9, vcc_lo
	global_store_b32 v[0:1], v2, off
.LBB0_31:
	s_nop 0
	s_sendmsg sendmsg(MSG_DEALLOC_VGPRS)
	s_endpgm
	.section	.rodata,"a",@progbits
	.p2align	6, 0x0
	.amdhsa_kernel bluestein_single_fwd_len1716_dim1_half_op_CI_CI
		.amdhsa_group_segment_fixed_size 6864
		.amdhsa_private_segment_fixed_size 0
		.amdhsa_kernarg_size 104
		.amdhsa_user_sgpr_count 2
		.amdhsa_user_sgpr_dispatch_ptr 0
		.amdhsa_user_sgpr_queue_ptr 0
		.amdhsa_user_sgpr_kernarg_segment_ptr 1
		.amdhsa_user_sgpr_dispatch_id 0
		.amdhsa_user_sgpr_private_segment_size 0
		.amdhsa_wavefront_size32 1
		.amdhsa_uses_dynamic_stack 0
		.amdhsa_enable_private_segment 0
		.amdhsa_system_sgpr_workgroup_id_x 1
		.amdhsa_system_sgpr_workgroup_id_y 0
		.amdhsa_system_sgpr_workgroup_id_z 0
		.amdhsa_system_sgpr_workgroup_info 0
		.amdhsa_system_vgpr_workitem_id 0
		.amdhsa_next_free_vgpr 209
		.amdhsa_next_free_sgpr 26
		.amdhsa_reserve_vcc 1
		.amdhsa_float_round_mode_32 0
		.amdhsa_float_round_mode_16_64 0
		.amdhsa_float_denorm_mode_32 3
		.amdhsa_float_denorm_mode_16_64 3
		.amdhsa_fp16_overflow 0
		.amdhsa_workgroup_processor_mode 1
		.amdhsa_memory_ordered 1
		.amdhsa_forward_progress 0
		.amdhsa_round_robin_scheduling 0
		.amdhsa_exception_fp_ieee_invalid_op 0
		.amdhsa_exception_fp_denorm_src 0
		.amdhsa_exception_fp_ieee_div_zero 0
		.amdhsa_exception_fp_ieee_overflow 0
		.amdhsa_exception_fp_ieee_underflow 0
		.amdhsa_exception_fp_ieee_inexact 0
		.amdhsa_exception_int_div_zero 0
	.end_amdhsa_kernel
	.text
.Lfunc_end0:
	.size	bluestein_single_fwd_len1716_dim1_half_op_CI_CI, .Lfunc_end0-bluestein_single_fwd_len1716_dim1_half_op_CI_CI
                                        ; -- End function
	.section	.AMDGPU.csdata,"",@progbits
; Kernel info:
; codeLenInByte = 28236
; NumSgprs: 28
; NumVgprs: 209
; ScratchSize: 0
; MemoryBound: 0
; FloatMode: 240
; IeeeMode: 1
; LDSByteSize: 6864 bytes/workgroup (compile time only)
; SGPRBlocks: 3
; VGPRBlocks: 26
; NumSGPRsForWavesPerEU: 28
; NumVGPRsForWavesPerEU: 209
; Occupancy: 7
; WaveLimiterHint : 1
; COMPUTE_PGM_RSRC2:SCRATCH_EN: 0
; COMPUTE_PGM_RSRC2:USER_SGPR: 2
; COMPUTE_PGM_RSRC2:TRAP_HANDLER: 0
; COMPUTE_PGM_RSRC2:TGID_X_EN: 1
; COMPUTE_PGM_RSRC2:TGID_Y_EN: 0
; COMPUTE_PGM_RSRC2:TGID_Z_EN: 0
; COMPUTE_PGM_RSRC2:TIDIG_COMP_CNT: 0
	.text
	.p2alignl 7, 3214868480
	.fill 96, 4, 3214868480
	.type	__hip_cuid_51415437a06e88e4,@object ; @__hip_cuid_51415437a06e88e4
	.section	.bss,"aw",@nobits
	.globl	__hip_cuid_51415437a06e88e4
__hip_cuid_51415437a06e88e4:
	.byte	0                               ; 0x0
	.size	__hip_cuid_51415437a06e88e4, 1

	.ident	"AMD clang version 19.0.0git (https://github.com/RadeonOpenCompute/llvm-project roc-6.4.0 25133 c7fe45cf4b819c5991fe208aaa96edf142730f1d)"
	.section	".note.GNU-stack","",@progbits
	.addrsig
	.addrsig_sym __hip_cuid_51415437a06e88e4
	.amdgpu_metadata
---
amdhsa.kernels:
  - .args:
      - .actual_access:  read_only
        .address_space:  global
        .offset:         0
        .size:           8
        .value_kind:     global_buffer
      - .actual_access:  read_only
        .address_space:  global
        .offset:         8
        .size:           8
        .value_kind:     global_buffer
      - .actual_access:  read_only
        .address_space:  global
        .offset:         16
        .size:           8
        .value_kind:     global_buffer
      - .actual_access:  read_only
        .address_space:  global
        .offset:         24
        .size:           8
        .value_kind:     global_buffer
      - .actual_access:  read_only
        .address_space:  global
        .offset:         32
        .size:           8
        .value_kind:     global_buffer
      - .offset:         40
        .size:           8
        .value_kind:     by_value
      - .address_space:  global
        .offset:         48
        .size:           8
        .value_kind:     global_buffer
      - .address_space:  global
        .offset:         56
        .size:           8
        .value_kind:     global_buffer
      - .address_space:  global
        .offset:         64
        .size:           8
        .value_kind:     global_buffer
      - .address_space:  global
        .offset:         72
        .size:           8
        .value_kind:     global_buffer
      - .offset:         80
        .size:           4
        .value_kind:     by_value
      - .address_space:  global
        .offset:         88
        .size:           8
        .value_kind:     global_buffer
      - .address_space:  global
        .offset:         96
        .size:           8
        .value_kind:     global_buffer
    .group_segment_fixed_size: 6864
    .kernarg_segment_align: 8
    .kernarg_segment_size: 104
    .language:       OpenCL C
    .language_version:
      - 2
      - 0
    .max_flat_workgroup_size: 156
    .name:           bluestein_single_fwd_len1716_dim1_half_op_CI_CI
    .private_segment_fixed_size: 0
    .sgpr_count:     28
    .sgpr_spill_count: 0
    .symbol:         bluestein_single_fwd_len1716_dim1_half_op_CI_CI.kd
    .uniform_work_group_size: 1
    .uses_dynamic_stack: false
    .vgpr_count:     209
    .vgpr_spill_count: 0
    .wavefront_size: 32
    .workgroup_processor_mode: 1
amdhsa.target:   amdgcn-amd-amdhsa--gfx1201
amdhsa.version:
  - 1
  - 2
...

	.end_amdgpu_metadata
